;; amdgpu-corpus repo=ROCm/rocFFT kind=compiled arch=gfx1030 opt=O3
	.text
	.amdgcn_target "amdgcn-amd-amdhsa--gfx1030"
	.amdhsa_code_object_version 6
	.protected	bluestein_single_back_len867_dim1_sp_op_CI_CI ; -- Begin function bluestein_single_back_len867_dim1_sp_op_CI_CI
	.globl	bluestein_single_back_len867_dim1_sp_op_CI_CI
	.p2align	8
	.type	bluestein_single_back_len867_dim1_sp_op_CI_CI,@function
bluestein_single_back_len867_dim1_sp_op_CI_CI: ; @bluestein_single_back_len867_dim1_sp_op_CI_CI
; %bb.0:
	s_load_dwordx4 s[12:15], s[4:5], 0x28
	v_mul_u32_u24_e32 v1, 0x506, v0
	v_mov_b32_e32 v91, 0
	s_mov_b32 s0, exec_lo
	v_lshrrev_b32_e32 v1, 16, v1
	v_add_nc_u32_e32 v90, s6, v1
	s_waitcnt lgkmcnt(0)
	v_cmpx_gt_u64_e64 s[12:13], v[90:91]
	s_cbranch_execz .LBB0_10
; %bb.1:
	s_clause 0x1
	s_load_dwordx4 s[8:11], s[4:5], 0x18
	s_load_dwordx4 s[0:3], s[4:5], 0x0
	v_mul_lo_u16 v1, v1, 51
	s_load_dwordx2 s[4:5], s[4:5], 0x38
	v_sub_nc_u16 v34, v0, v1
	v_and_b32_e32 v130, 0xffff, v34
	v_lshlrev_b32_e32 v129, 3, v130
	s_waitcnt lgkmcnt(0)
	s_load_dwordx4 s[16:19], s[8:9], 0x0
	s_clause 0x3
	global_load_dwordx2 v[97:98], v129, s[0:1]
	global_load_dwordx2 v[101:102], v129, s[0:1] offset:408
	global_load_dwordx2 v[99:100], v129, s[0:1] offset:816
	global_load_dwordx2 v[103:104], v129, s[0:1] offset:1224
	v_add_co_u32 v131, s6, s0, v129
	v_add_co_ci_u32_e64 v132, null, s1, 0, s6
	s_clause 0x1
	global_load_dwordx2 v[105:106], v129, s[0:1] offset:1632
	global_load_dwordx2 v[107:108], v129, s[0:1] offset:2040
	v_add_nc_u32_e32 v135, 0x800, v129
	v_add_nc_u32_e32 v136, 0x1000, v129
	s_waitcnt lgkmcnt(0)
	v_mad_u64_u32 v[0:1], null, s18, v90, 0
	v_mad_u64_u32 v[2:3], null, s16, v130, 0
	s_mul_i32 s0, s17, 0x198
	s_mul_hi_u32 s1, s16, 0x198
	s_mul_i32 s6, s16, 0x198
	s_add_i32 s1, s1, s0
	v_mad_u64_u32 v[4:5], null, s19, v90, v[1:2]
	v_mad_u64_u32 v[5:6], null, s17, v130, v[3:4]
	v_mov_b32_e32 v1, v4
	v_add_co_u32 v6, vcc_lo, 0x800, v131
	v_add_co_ci_u32_e32 v7, vcc_lo, 0, v132, vcc_lo
	v_add_co_u32 v8, vcc_lo, 0x1000, v131
	v_mov_b32_e32 v3, v5
	v_lshlrev_b64 v[0:1], 3, v[0:1]
	v_add_co_ci_u32_e32 v9, vcc_lo, 0, v132, vcc_lo
	v_add_co_u32 v119, vcc_lo, 0x1800, v131
	v_add_co_ci_u32_e32 v120, vcc_lo, 0, v132, vcc_lo
	v_lshlrev_b64 v[2:3], 3, v[2:3]
	v_add_co_u32 v0, vcc_lo, s14, v0
	v_add_co_ci_u32_e32 v1, vcc_lo, s15, v1, vcc_lo
	s_clause 0x3
	global_load_dwordx2 v[117:118], v[6:7], off offset:400
	global_load_dwordx2 v[115:116], v[6:7], off offset:808
	;; [unrolled: 1-line block ×4, first 2 shown]
	v_add_co_u32 v0, vcc_lo, v0, v2
	v_add_co_ci_u32_e32 v1, vcc_lo, v1, v3, vcc_lo
	global_load_dwordx2 v[111:112], v[6:7], off offset:2032
	v_add_co_u32 v2, vcc_lo, v0, s6
	v_add_co_ci_u32_e32 v3, vcc_lo, s1, v1, vcc_lo
	s_clause 0x3
	global_load_dwordx2 v[95:96], v[8:9], off offset:392
	global_load_dwordx2 v[88:89], v[8:9], off offset:800
	;; [unrolled: 1-line block ×4, first 2 shown]
	v_add_co_u32 v4, vcc_lo, v2, s6
	v_add_co_ci_u32_e32 v5, vcc_lo, s1, v3, vcc_lo
	v_add_co_u32 v6, vcc_lo, v4, s6
	v_add_co_ci_u32_e32 v7, vcc_lo, s1, v5, vcc_lo
	;; [unrolled: 2-line block ×3, first 2 shown]
	s_clause 0x3
	global_load_dwordx2 v[0:1], v[0:1], off
	global_load_dwordx2 v[2:3], v[2:3], off
	global_load_dwordx2 v[4:5], v[4:5], off
	global_load_dwordx2 v[6:7], v[6:7], off
	v_add_co_u32 v12, vcc_lo, v10, s6
	v_add_co_ci_u32_e32 v13, vcc_lo, s1, v11, vcc_lo
	global_load_dwordx2 v[10:11], v[10:11], off
	v_add_co_u32 v14, vcc_lo, v12, s6
	v_add_co_ci_u32_e32 v15, vcc_lo, s1, v13, vcc_lo
	global_load_dwordx2 v[12:13], v[12:13], off
	;; [unrolled: 3-line block ×11, first 2 shown]
	v_add_co_u32 v35, vcc_lo, v32, s6
	v_add_co_ci_u32_e32 v36, vcc_lo, s1, v33, vcc_lo
	global_load_dwordx2 v[91:92], v[8:9], off offset:2024
	global_load_dwordx2 v[8:9], v[32:33], off
	global_load_dwordx2 v[93:94], v[119:120], off offset:384
	global_load_dwordx2 v[32:33], v[35:36], off
	v_add_nc_u32_e32 v35, 0xc00, v129
	s_load_dwordx4 s[8:11], s[10:11], 0x0
	v_cmp_gt_u16_e32 vcc_lo, 34, v34
	s_waitcnt vmcnt(18)
	v_mul_f32_e32 v36, v1, v98
	v_mul_f32_e32 v37, v0, v98
	s_waitcnt vmcnt(17)
	v_mul_f32_e32 v38, v3, v102
	s_waitcnt vmcnt(16)
	;; [unrolled: 2-line block ×3, first 2 shown]
	v_mul_f32_e32 v41, v6, v104
	v_fmac_f32_e32 v36, v0, v97
	v_fma_f32 v37, v1, v97, -v37
	v_mul_f32_e32 v1, v2, v102
	v_fmac_f32_e32 v38, v2, v101
	v_mul_f32_e32 v0, v5, v100
	v_mul_f32_e32 v2, v7, v104
	v_fma_f32 v39, v3, v101, -v1
	v_fma_f32 v1, v5, v99, -v40
	v_fmac_f32_e32 v0, v4, v99
	v_fmac_f32_e32 v2, v6, v103
	v_fma_f32 v3, v7, v103, -v41
	s_waitcnt vmcnt(14)
	v_mul_f32_e32 v4, v11, v106
	v_mul_f32_e32 v5, v10, v106
	ds_write2_b64 v129, v[36:37], v[38:39] offset1:51
	s_waitcnt vmcnt(13)
	v_mul_f32_e32 v6, v13, v108
	ds_write2_b64 v129, v[0:1], v[2:3] offset0:102 offset1:153
	v_fmac_f32_e32 v4, v10, v105
	v_mul_f32_e32 v1, v12, v108
	s_waitcnt vmcnt(12)
	v_mul_f32_e32 v0, v15, v118
	v_mul_f32_e32 v3, v14, v118
	s_waitcnt vmcnt(11)
	v_mul_f32_e32 v2, v17, v116
	v_mul_f32_e32 v10, v16, v116
	v_fma_f32 v5, v11, v105, -v5
	v_fmac_f32_e32 v6, v12, v107
	v_fma_f32 v7, v13, v107, -v1
	v_fmac_f32_e32 v0, v14, v117
	;; [unrolled: 2-line block ×3, first 2 shown]
	v_fma_f32 v3, v17, v115, -v10
	ds_write2_b64 v129, v[4:5], v[6:7] offset0:204 offset1:255
	s_waitcnt vmcnt(10)
	v_mul_f32_e32 v10, v19, v114
	v_mul_f32_e32 v11, v18, v114
	s_waitcnt vmcnt(9)
	v_mul_f32_e32 v4, v21, v110
	ds_write2_b64 v135, v[0:1], v[2:3] offset0:50 offset1:101
	v_mul_f32_e32 v1, v20, v110
	s_waitcnt vmcnt(8)
	v_mul_f32_e32 v3, v22, v112
	v_mul_f32_e32 v0, v23, v112
	s_waitcnt vmcnt(7)
	v_mul_f32_e32 v7, v24, v96
	v_mul_f32_e32 v2, v25, v96
	v_fma_f32 v5, v21, v109, -v1
	v_fma_f32 v1, v23, v111, -v3
	v_fmac_f32_e32 v10, v18, v113
	s_waitcnt vmcnt(6)
	v_mul_f32_e32 v6, v27, v89
	v_fma_f32 v3, v25, v95, -v7
	v_mul_f32_e32 v7, v26, v89
	v_fma_f32 v11, v19, v113, -v11
	v_fmac_f32_e32 v4, v20, v109
	s_waitcnt vmcnt(5)
	v_mul_f32_e32 v12, v29, v87
	v_mul_f32_e32 v13, v28, v87
	v_fmac_f32_e32 v0, v22, v111
	v_fmac_f32_e32 v2, v24, v95
	;; [unrolled: 1-line block ×3, first 2 shown]
	s_waitcnt vmcnt(4)
	v_mul_f32_e32 v14, v31, v85
	v_mul_f32_e32 v15, v30, v85
	v_fma_f32 v7, v27, v88, -v7
	s_waitcnt vmcnt(2)
	v_mul_f32_e32 v16, v9, v92
	v_mul_f32_e32 v17, v8, v92
	s_waitcnt vmcnt(0)
	v_mul_f32_e32 v18, v33, v94
	v_mul_f32_e32 v19, v32, v94
	v_fmac_f32_e32 v12, v28, v86
	v_fma_f32 v13, v29, v86, -v13
	v_fmac_f32_e32 v14, v30, v84
	v_fma_f32 v15, v31, v84, -v15
	;; [unrolled: 2-line block ×4, first 2 shown]
	ds_write2_b64 v135, v[10:11], v[4:5] offset0:152 offset1:203
	ds_write2_b64 v35, v[0:1], v[2:3] offset0:126 offset1:177
	;; [unrolled: 1-line block ×4, first 2 shown]
	ds_write_b64 v129, v[18:19] offset:6528
	s_waitcnt lgkmcnt(0)
	s_barrier
	buffer_gl0_inv
	ds_read2_b64 v[24:27], v129 offset1:51
	ds_read_b64 v[32:33], v129 offset:6528
	ds_read2_b64 v[28:31], v129 offset0:102 offset1:153
	ds_read2_b64 v[20:23], v136 offset0:202 offset1:253
	;; [unrolled: 1-line block ×7, first 2 shown]
	s_waitcnt lgkmcnt(0)
	s_barrier
	buffer_gl0_inv
	v_add_f32_e32 v40, v24, v26
	v_add_f32_e32 v41, v25, v27
	;; [unrolled: 1-line block ×3, first 2 shown]
	v_sub_f32_e32 v43, v27, v33
	v_add_f32_e32 v27, v22, v28
	v_sub_f32_e32 v44, v28, v22
	v_add_f32_e32 v28, v40, v28
	v_add_f32_e32 v49, v18, v12
	v_sub_f32_e32 v50, v12, v18
	v_add_f32_e32 v37, v32, v26
	v_sub_f32_e32 v42, v26, v32
	v_add_f32_e32 v28, v28, v30
	v_add_f32_e32 v26, v23, v29
	;; [unrolled: 5-line block ×3, first 2 shown]
	v_mul_f32_e32 v40, 0xbeb8f4ab, v43
	v_add_f32_e32 v29, v29, v31
	v_mul_f32_e32 v41, 0xbeb8f4ab, v42
	v_add_f32_e32 v12, v12, v14
	v_mul_f32_e32 v52, 0xbf2c7751, v43
	v_mul_f32_e32 v53, 0xbf2c7751, v42
	v_add_f32_e32 v13, v29, v13
	v_mul_f32_e32 v54, 0xbf65296c, v43
	v_add_f32_e32 v12, v12, v4
	v_mul_f32_e32 v55, 0xbf65296c, v42
	;; [unrolled: 5-line block ×3, first 2 shown]
	v_mul_f32_e32 v60, 0xbf4c4adb, v43
	v_mul_f32_e32 v62, 0xbf06c442, v43
	;; [unrolled: 1-line block ×3, first 2 shown]
	v_add_f32_e32 v12, v12, v0
	v_add_f32_e32 v13, v13, v5
	;; [unrolled: 1-line block ×4, first 2 shown]
	v_sub_f32_e32 v46, v30, v20
	v_add_f32_e32 v12, v12, v2
	v_sub_f32_e32 v47, v31, v21
	v_mul_f32_e32 v59, 0xbf763a35, v42
	v_mul_f32_e32 v61, 0xbf4c4adb, v42
	;; [unrolled: 1-line block ×3, first 2 shown]
	v_add_f32_e32 v12, v12, v8
	v_mul_f32_e32 v42, 0xbe3c28d5, v42
	v_mul_f32_e32 v64, 0xbf2c7751, v45
	;; [unrolled: 1-line block ×4, first 2 shown]
	v_add_f32_e32 v12, v12, v10
	v_mul_f32_e32 v67, 0xbe3c28d5, v45
	v_mul_f32_e32 v68, 0x3f06c442, v45
	;; [unrolled: 1-line block ×9, first 2 shown]
	v_fma_f32 v30, 0x3f6eb680, v37, -v40
	v_fmac_f32_e32 v40, 0x3f6eb680, v37
	v_fma_f32 v31, 0x3f3d2fb0, v37, -v52
	v_fmac_f32_e32 v52, 0x3f3d2fb0, v37
	;; [unrolled: 2-line block ×8, first 2 shown]
	v_fmamk_f32 v37, v36, 0x3f6eb680, v41
	v_fma_f32 v41, 0x3f6eb680, v36, -v41
	v_fmamk_f32 v155, v36, 0x3f3d2fb0, v53
	v_fma_f32 v53, 0x3f3d2fb0, v36, -v53
	;; [unrolled: 2-line block ×4, first 2 shown]
	v_add_f32_e32 v13, v13, v7
	v_add_f32_e32 v12, v12, v16
	v_mul_f32_e32 v75, 0x3f06c442, v44
	v_mul_f32_e32 v76, 0x3f763a35, v44
	;; [unrolled: 1-line block ×14, first 2 shown]
	v_fmamk_f32 v158, v36, 0xbe8c1d8e, v59
	v_fma_f32 v59, 0xbe8c1d8e, v36, -v59
	v_fmamk_f32 v159, v36, 0xbf1a4643, v61
	v_fma_f32 v61, 0xbf1a4643, v36, -v61
	;; [unrolled: 2-line block ×4, first 2 shown]
	v_fma_f32 v42, 0x3f3d2fb0, v27, -v64
	v_fmac_f32_e32 v64, 0x3f3d2fb0, v27
	v_fma_f32 v162, 0x3dbcf732, v27, -v65
	v_fmac_f32_e32 v65, 0x3dbcf732, v27
	;; [unrolled: 2-line block ×8, first 2 shown]
	v_fmamk_f32 v27, v26, 0x3f3d2fb0, v71
	v_fma_f32 v71, 0x3f3d2fb0, v26, -v71
	v_fmamk_f32 v169, v26, 0x3dbcf732, v72
	v_fma_f32 v72, 0x3dbcf732, v26, -v72
	;; [unrolled: 2-line block ×4, first 2 shown]
	v_add_f32_e32 v28, v24, v30
	v_add_f32_e32 v29, v25, v37
	;; [unrolled: 1-line block ×25, first 2 shown]
	v_mul_f32_e32 v123, 0xbf4c4adb, v46
	v_mul_f32_e32 v124, 0x3e3c28d5, v46
	;; [unrolled: 1-line block ×5, first 2 shown]
	v_fmamk_f32 v172, v26, 0xbf59a7d5, v75
	v_fma_f32 v75, 0xbf59a7d5, v26, -v75
	v_fmamk_f32 v173, v26, 0xbe8c1d8e, v76
	v_fma_f32 v76, 0xbe8c1d8e, v26, -v76
	;; [unrolled: 2-line block ×4, first 2 shown]
	v_fma_f32 v44, 0x3ee437d1, v39, -v78
	v_fmac_f32_e32 v78, 0x3ee437d1, v39
	v_fma_f32 v176, 0xbf1a4643, v39, -v79
	v_fmac_f32_e32 v79, 0xbf1a4643, v39
	;; [unrolled: 2-line block ×8, first 2 shown]
	v_fmamk_f32 v39, v38, 0x3ee437d1, v122
	v_fmamk_f32 v185, v38, 0xbe8c1d8e, v125
	v_add_f32_e32 v149, v25, v156
	v_add_f32_e32 v156, v25, v158
	;; [unrolled: 1-line block ×28, first 2 shown]
	v_mul_f32_e32 v127, 0xbeb8f4ab, v46
	v_mul_f32_e32 v128, 0xbf7ee86f, v46
	;; [unrolled: 1-line block ×10, first 2 shown]
	v_fma_f32 v122, 0x3ee437d1, v38, -v122
	v_fmamk_f32 v183, v38, 0xbf1a4643, v123
	v_fma_f32 v123, 0xbf1a4643, v38, -v123
	v_fmamk_f32 v184, v38, 0xbf7ba420, v124
	v_fma_f32 v124, 0xbf7ba420, v38, -v124
	v_fma_f32 v125, 0xbe8c1d8e, v38, -v125
	v_fmamk_f32 v186, v38, 0x3f3d2fb0, v126
	v_fma_f32 v126, 0x3f3d2fb0, v38, -v126
	v_fmamk_f32 v196, v51, 0x3f6eb680, v142
	v_fma_f32 v197, 0x3ee437d1, v49, -v143
	v_fmac_f32_e32 v143, 0x3ee437d1, v49
	v_add_f32_e32 v31, v162, v31
	v_add_f32_e32 v42, v170, v149
	;; [unrolled: 1-line block ×16, first 2 shown]
	v_mul_f32_e32 v47, 0x3f2c7751, v48
	v_mul_f32_e32 v134, 0xbf7ee86f, v50
	;; [unrolled: 1-line block ×6, first 2 shown]
	v_fmamk_f32 v187, v38, 0x3f6eb680, v127
	v_fma_f32 v127, 0x3f6eb680, v38, -v127
	v_fmamk_f32 v188, v38, 0x3dbcf732, v128
	v_fma_f32 v128, 0x3dbcf732, v38, -v128
	;; [unrolled: 2-line block ×3, first 2 shown]
	v_fma_f32 v46, 0x3dbcf732, v49, -v133
	v_fmac_f32_e32 v133, 0x3dbcf732, v49
	v_fma_f32 v191, 0xbf7ba420, v49, -v137
	v_fmac_f32_e32 v137, 0xbf7ba420, v49
	;; [unrolled: 2-line block ×4, first 2 shown]
	v_fmamk_f32 v198, v51, 0x3ee437d1, v144
	v_fma_f32 v144, 0x3ee437d1, v51, -v144
	v_fma_f32 v199, 0xbf59a7d5, v49, -v145
	v_fmac_f32_e32 v145, 0xbf59a7d5, v49
	v_add_f32_e32 v66, v173, v157
	v_add_f32_e32 v62, v70, v62
	;; [unrolled: 1-line block ×18, first 2 shown]
	v_fma_f32 v32, 0xbf1a4643, v49, -v147
	v_fmac_f32_e32 v147, 0xbf1a4643, v49
	v_fma_f32 v53, 0x3f3d2fb0, v49, -v47
	v_mul_f32_e32 v50, 0x3f2c7751, v50
	v_sub_f32_e32 v55, v15, v17
	v_fmac_f32_e32 v47, 0x3f3d2fb0, v49
	v_sub_f32_e32 v49, v14, v16
	v_fmamk_f32 v190, v51, 0x3dbcf732, v134
	v_fmamk_f32 v194, v51, 0xbe8c1d8e, v140
	v_fma_f32 v140, 0xbe8c1d8e, v51, -v140
	v_fma_f32 v142, 0x3f6eb680, v51, -v142
	v_add_f32_e32 v58, v187, v66
	v_add_f32_e32 v66, v189, v70
	;; [unrolled: 1-line block ×5, first 2 shown]
	v_fmamk_f32 v56, v51, 0x3f3d2fb0, v50
	v_add_f32_e32 v14, v16, v14
	v_mul_f32_e32 v16, 0xbf763a35, v55
	v_fma_f32 v50, 0x3f3d2fb0, v51, -v50
	v_add_f32_e32 v15, v17, v15
	v_mul_f32_e32 v17, 0xbf763a35, v49
	v_fma_f32 v134, 0x3dbcf732, v51, -v134
	v_fmamk_f32 v192, v51, 0xbf7ba420, v138
	v_fma_f32 v138, 0xbf7ba420, v51, -v138
	v_fmamk_f32 v200, v51, 0xbf59a7d5, v146
	v_fma_f32 v146, 0xbf59a7d5, v51, -v146
	v_add_f32_e32 v65, v166, v152
	v_add_f32_e32 v26, v46, v26
	;; [unrolled: 1-line block ×11, first 2 shown]
	v_fmamk_f32 v48, v51, 0xbf1a4643, v148
	v_fma_f32 v52, 0xbf1a4643, v51, -v148
	v_add_f32_e32 v51, v56, v66
	v_fma_f32 v56, 0xbe8c1d8e, v14, -v16
	v_add_f32_e32 v24, v47, v24
	v_add_f32_e32 v25, v50, v25
	v_fmamk_f32 v47, v15, 0xbe8c1d8e, v17
	v_mul_f32_e32 v50, 0x3f06c442, v55
	v_fmac_f32_e32 v16, 0xbe8c1d8e, v14
	v_add_f32_e32 v57, v180, v65
	v_add_f32_e32 v29, v134, v29
	v_add_f32_e32 v30, v191, v30
	v_add_f32_e32 v13, v13, v21
	v_add_f32_e32 v26, v56, v26
	v_fma_f32 v17, 0xbe8c1d8e, v15, -v17
	v_add_f32_e32 v27, v47, v27
	v_fma_f32 v47, 0xbf59a7d5, v14, -v50
	v_mul_f32_e32 v56, 0x3f06c442, v49
	v_add_f32_e32 v16, v16, v28
	v_mul_f32_e32 v28, 0x3f2c7751, v55
	v_add_f32_e32 v31, v192, v31
	v_add_f32_e32 v36, v137, v36
	;; [unrolled: 1-line block ×7, first 2 shown]
	v_fmamk_f32 v30, v15, 0xbf59a7d5, v56
	v_fmac_f32_e32 v50, 0xbf59a7d5, v14
	v_fma_f32 v47, 0xbf59a7d5, v15, -v56
	v_fma_f32 v56, 0x3f3d2fb0, v14, -v28
	v_mul_f32_e32 v57, 0x3f2c7751, v49
	v_add_f32_e32 v30, v30, v31
	v_add_f32_e32 v31, v50, v36
	v_add_f32_e32 v36, v47, v37
	v_add_f32_e32 v37, v56, v38
	v_fmamk_f32 v38, v15, 0x3f3d2fb0, v57
	v_mul_f32_e32 v47, 0xbf65296c, v55
	v_fmac_f32_e32 v28, 0x3f3d2fb0, v14
	v_fma_f32 v50, 0x3f3d2fb0, v15, -v57
	v_mul_f32_e32 v56, 0xbf65296c, v49
	v_add_f32_e32 v64, v172, v156
	v_add_f32_e32 v38, v38, v39
	v_fma_f32 v39, 0x3ee437d1, v14, -v47
	v_add_f32_e32 v28, v28, v40
	v_add_f32_e32 v40, v50, v41
	v_fmamk_f32 v41, v15, 0x3ee437d1, v56
	v_mul_f32_e32 v50, 0xbe3c28d5, v55
	v_add_f32_e32 v60, v69, v60
	v_add_f32_e32 v54, v186, v64
	;; [unrolled: 1-line block ×4, first 2 shown]
	v_fmac_f32_e32 v47, 0x3ee437d1, v14
	v_fma_f32 v42, 0x3ee437d1, v15, -v56
	v_add_f32_e32 v18, v41, v18
	v_fma_f32 v41, 0xbf7ba420, v14, -v50
	v_mul_f32_e32 v56, 0xbe3c28d5, v49
	v_add_f32_e32 v61, v76, v61
	v_add_f32_e32 v67, v167, v153
	;; [unrolled: 1-line block ×7, first 2 shown]
	v_mul_f32_e32 v43, 0x3f7ee86f, v55
	v_add_f32_e32 v20, v41, v20
	v_fmamk_f32 v41, v15, 0xbf7ba420, v56
	v_fmac_f32_e32 v50, 0xbf7ba420, v14
	v_fma_f32 v47, 0xbf7ba420, v15, -v56
	v_mul_f32_e32 v57, 0x3f7ee86f, v49
	v_add_f32_e32 v69, v168, v154
	v_add_f32_e32 v60, v127, v61
	;; [unrolled: 1-line block ×7, first 2 shown]
	v_fma_f32 v56, 0x3dbcf732, v14, -v43
	v_add_f32_e32 v21, v41, v21
	v_add_f32_e32 v41, v50, v44
	;; [unrolled: 1-line block ×3, first 2 shown]
	v_fmamk_f32 v44, v15, 0x3dbcf732, v57
	v_mul_f32_e32 v47, 0xbeb8f4ab, v55
	v_fmac_f32_e32 v43, 0x3dbcf732, v14
	v_mul_f32_e32 v50, 0xbeb8f4ab, v49
	v_add_f32_e32 v62, v121, v62
	v_add_f32_e32 v65, v182, v69
	;; [unrolled: 1-line block ×5, first 2 shown]
	v_fma_f32 v45, 0x3f6eb680, v14, -v47
	v_add_f32_e32 v33, v43, v33
	v_fmamk_f32 v43, v15, 0x3f6eb680, v50
	v_mul_f32_e32 v55, 0xbf4c4adb, v55
	v_add_f32_e32 v63, v77, v63
	v_add_f32_e32 v54, v147, v62
	;; [unrolled: 1-line block ×4, first 2 shown]
	v_fmac_f32_e32 v47, 0x3f6eb680, v14
	v_add_f32_e32 v43, v43, v48
	v_fma_f32 v45, 0x3f6eb680, v15, -v50
	v_fma_f32 v48, 0xbf1a4643, v14, -v55
	v_sub_f32_e32 v50, v5, v11
	v_add_f32_e32 v63, v128, v63
	v_mul_f32_e32 v49, 0xbf4c4adb, v49
	v_add_f32_e32 v47, v47, v54
	v_add_f32_e32 v48, v48, v53
	;; [unrolled: 1-line block ×3, first 2 shown]
	v_mul_f32_e32 v54, 0xbf4c4adb, v50
	v_sub_f32_e32 v4, v4, v10
	v_add_f32_e32 v52, v52, v63
	v_fmac_f32_e32 v55, 0xbf1a4643, v14
	v_fma_f32 v10, 0xbf1a4643, v15, -v49
	v_add_f32_e32 v5, v11, v5
	v_fma_f32 v11, 0xbf1a4643, v53, -v54
	v_mul_f32_e32 v14, 0xbf4c4adb, v4
	v_add_f32_e32 v45, v45, v52
	v_fmamk_f32 v52, v15, 0xbf1a4643, v49
	v_add_f32_e32 v10, v10, v25
	v_add_f32_e32 v11, v11, v26
	v_fmamk_f32 v25, v5, 0xbf1a4643, v14
	v_mul_f32_e32 v26, 0x3f763a35, v50
	v_fma_f32 v14, 0xbf1a4643, v5, -v14
	v_mul_f32_e32 v49, 0x3f763a35, v4
	v_add_f32_e32 v23, v56, v23
	v_fma_f32 v56, 0x3dbcf732, v15, -v57
	v_add_f32_e32 v15, v52, v51
	v_add_f32_e32 v25, v25, v27
	v_fma_f32 v27, 0xbe8c1d8e, v53, -v26
	v_add_f32_e32 v14, v14, v17
	v_fmamk_f32 v17, v5, 0xbe8c1d8e, v49
	v_mul_f32_e32 v51, 0xbeb8f4ab, v50
	v_fmac_f32_e32 v26, 0xbe8c1d8e, v53
	v_add_f32_e32 v27, v27, v29
	v_fma_f32 v29, 0xbe8c1d8e, v5, -v49
	v_add_f32_e32 v17, v17, v30
	v_fma_f32 v30, 0x3f6eb680, v53, -v51
	v_mul_f32_e32 v49, 0xbeb8f4ab, v4
	v_add_f32_e32 v26, v26, v31
	v_mul_f32_e32 v31, 0xbf06c442, v50
	v_add_f32_e32 v29, v29, v36
	v_add_f32_e32 v30, v30, v37
	v_fmamk_f32 v36, v5, 0x3f6eb680, v49
	v_fmac_f32_e32 v51, 0x3f6eb680, v53
	v_fma_f32 v37, 0x3f6eb680, v5, -v49
	v_fma_f32 v49, 0xbf59a7d5, v53, -v31
	v_mul_f32_e32 v52, 0xbf06c442, v4
	v_add_f32_e32 v36, v36, v38
	v_add_f32_e32 v28, v51, v28
	;; [unrolled: 1-line block ×4, first 2 shown]
	v_fmamk_f32 v39, v5, 0xbf59a7d5, v52
	v_mul_f32_e32 v40, 0x3f7ee86f, v50
	v_fmac_f32_e32 v31, 0xbf59a7d5, v53
	v_fma_f32 v49, 0xbf59a7d5, v5, -v52
	v_mul_f32_e32 v51, 0x3f7ee86f, v4
	v_add_f32_e32 v18, v39, v18
	v_fma_f32 v39, 0x3dbcf732, v53, -v40
	v_add_f32_e32 v19, v31, v19
	v_add_f32_e32 v31, v49, v42
	v_fmamk_f32 v42, v5, 0x3dbcf732, v51
	v_mul_f32_e32 v49, 0xbf2c7751, v50
	v_add_f32_e32 v46, v146, v60
	v_add_f32_e32 v20, v39, v20
	v_fmac_f32_e32 v40, 0x3dbcf732, v53
	v_fma_f32 v39, 0x3dbcf732, v5, -v51
	v_add_f32_e32 v21, v42, v21
	v_fma_f32 v42, 0x3f3d2fb0, v53, -v49
	v_mul_f32_e32 v51, 0xbf2c7751, v4
	v_add_f32_e32 v46, v56, v46
	v_add_f32_e32 v40, v40, v41
	v_mul_f32_e32 v52, 0xbe3c28d5, v4
	v_add_f32_e32 v23, v42, v23
	v_fmamk_f32 v41, v5, 0x3f3d2fb0, v51
	v_fma_f32 v42, 0x3f3d2fb0, v5, -v51
	v_add_f32_e32 v22, v39, v22
	v_mul_f32_e32 v39, 0xbe3c28d5, v50
	v_fmac_f32_e32 v49, 0x3f3d2fb0, v53
	v_add_f32_e32 v41, v41, v44
	v_add_f32_e32 v42, v42, v46
	v_fmamk_f32 v44, v5, 0xbf7ba420, v52
	v_mul_f32_e32 v46, 0x3f65296c, v50
	v_fma_f32 v51, 0xbf7ba420, v53, -v39
	v_fmac_f32_e32 v39, 0xbf7ba420, v53
	v_mul_f32_e32 v4, 0x3f65296c, v4
	v_add_f32_e32 v43, v44, v43
	v_fma_f32 v44, 0x3ee437d1, v53, -v46
	v_add_f32_e32 v24, v55, v24
	v_add_f32_e32 v39, v39, v47
	v_sub_f32_e32 v47, v7, v9
	v_add_f32_e32 v33, v49, v33
	v_add_f32_e32 v44, v44, v48
	;; [unrolled: 1-line block ×3, first 2 shown]
	v_sub_f32_e32 v6, v6, v8
	v_fma_f32 v49, 0xbf7ba420, v5, -v52
	v_fmamk_f32 v50, v5, 0x3ee437d1, v4
	v_mul_f32_e32 v8, 0xbf06c442, v47
	v_fmac_f32_e32 v46, 0x3ee437d1, v53
	v_fma_f32 v4, 0x3ee437d1, v5, -v4
	v_add_f32_e32 v5, v9, v7
	v_mul_f32_e32 v7, 0xbf06c442, v6
	v_fmac_f32_e32 v54, 0xbf1a4643, v53
	v_fma_f32 v9, 0xbf59a7d5, v48, -v8
	v_add_f32_e32 v24, v46, v24
	v_add_f32_e32 v4, v4, v10
	v_mul_f32_e32 v10, 0x3f65296c, v47
	v_fmamk_f32 v46, v5, 0xbf59a7d5, v7
	v_add_f32_e32 v16, v54, v16
	v_add_f32_e32 v9, v9, v11
	v_fmac_f32_e32 v8, 0xbf59a7d5, v48
	v_fma_f32 v7, 0xbf59a7d5, v5, -v7
	v_fma_f32 v11, 0x3ee437d1, v48, -v10
	v_add_f32_e32 v25, v46, v25
	v_mul_f32_e32 v46, 0x3f65296c, v6
	v_add_f32_e32 v8, v8, v16
	v_add_f32_e32 v7, v7, v14
	;; [unrolled: 1-line block ×3, first 2 shown]
	v_mul_f32_e32 v14, 0xbf7ee86f, v47
	v_fmamk_f32 v16, v5, 0x3ee437d1, v46
	v_fmac_f32_e32 v10, 0x3ee437d1, v48
	v_fma_f32 v27, 0x3ee437d1, v5, -v46
	v_mul_f32_e32 v46, 0xbf7ee86f, v6
	v_add_f32_e32 v45, v49, v45
	v_fma_f32 v49, 0x3dbcf732, v48, -v14
	v_add_f32_e32 v10, v10, v26
	v_add_f32_e32 v16, v16, v17
	v_fmamk_f32 v26, v5, 0x3dbcf732, v46
	v_add_f32_e32 v17, v27, v29
	v_add_f32_e32 v27, v49, v30
	v_mul_f32_e32 v29, 0x3f4c4adb, v47
	v_fmac_f32_e32 v14, 0x3dbcf732, v48
	v_fma_f32 v30, 0x3dbcf732, v5, -v46
	v_add_f32_e32 v26, v26, v36
	v_mul_f32_e32 v36, 0x3f4c4adb, v6
	v_fma_f32 v46, 0xbf1a4643, v48, -v29
	v_add_f32_e32 v14, v14, v28
	v_add_f32_e32 v28, v30, v37
	v_mul_f32_e32 v30, 0xbeb8f4ab, v47
	v_fmamk_f32 v37, v5, 0xbf1a4643, v36
	v_add_f32_e32 v38, v46, v38
	v_fmac_f32_e32 v29, 0xbf1a4643, v48
	v_fma_f32 v36, 0xbf1a4643, v5, -v36
	v_fma_f32 v46, 0x3f6eb680, v48, -v30
	v_add_f32_e32 v18, v37, v18
	v_mul_f32_e32 v37, 0xbeb8f4ab, v6
	v_add_f32_e32 v19, v29, v19
	v_add_f32_e32 v29, v36, v31
	;; [unrolled: 1-line block ×3, first 2 shown]
	v_mul_f32_e32 v46, 0xbe3c28d5, v6
	v_fmamk_f32 v36, v5, 0x3f6eb680, v37
	v_mul_f32_e32 v31, 0xbe3c28d5, v47
	v_fmac_f32_e32 v30, 0x3f6eb680, v48
	v_fma_f32 v37, 0x3f6eb680, v5, -v37
	v_add_f32_e32 v32, v51, v32
	v_add_f32_e32 v21, v36, v21
	v_fmamk_f32 v36, v5, 0xbf7ba420, v46
	v_fma_f32 v49, 0xbf7ba420, v48, -v31
	v_add_f32_e32 v30, v30, v40
	v_add_f32_e32 v22, v37, v22
	v_mul_f32_e32 v37, 0x3f2c7751, v47
	v_fmac_f32_e32 v31, 0xbf7ba420, v48
	v_fma_f32 v40, 0xbf7ba420, v5, -v46
	v_add_f32_e32 v36, v36, v41
	v_mul_f32_e32 v41, 0x3f2c7751, v6
	v_fma_f32 v46, 0x3f3d2fb0, v48, -v37
	v_add_f32_e32 v31, v31, v33
	v_add_f32_e32 v33, v40, v42
	v_mul_f32_e32 v40, 0xbf763a35, v47
	v_fmamk_f32 v42, v5, 0x3f3d2fb0, v41
	v_add_f32_e32 v32, v46, v32
	v_fmac_f32_e32 v37, 0x3f3d2fb0, v48
	v_fma_f32 v41, 0x3f3d2fb0, v5, -v41
	v_fma_f32 v46, 0xbe8c1d8e, v48, -v40
	v_add_f32_e32 v42, v42, v43
	v_sub_f32_e32 v43, v1, v3
	v_mul_f32_e32 v6, 0xbf763a35, v6
	v_add_f32_e32 v37, v37, v39
	v_add_f32_e32 v39, v41, v45
	;; [unrolled: 1-line block ×3, first 2 shown]
	v_sub_f32_e32 v45, v0, v2
	v_add_f32_e32 v46, v2, v0
	v_mul_f32_e32 v2, 0xbe3c28d5, v43
	v_fma_f32 v0, 0xbe8c1d8e, v5, -v6
	v_add_f32_e32 v47, v3, v1
	v_mul_f32_e32 v1, 0xbe3c28d5, v45
	v_add_f32_e32 v15, v50, v15
	v_fma_f32 v3, 0xbf7ba420, v46, -v2
	v_fmamk_f32 v44, v5, 0xbe8c1d8e, v6
	v_fmac_f32_e32 v40, 0xbe8c1d8e, v48
	v_add_f32_e32 v48, v0, v4
	v_fmamk_f32 v4, v47, 0xbf7ba420, v1
	v_mul_f32_e32 v6, 0x3eb8f4ab, v43
	v_add_f32_e32 v0, v3, v9
	v_fmac_f32_e32 v2, 0xbf7ba420, v46
	v_fma_f32 v3, 0xbf7ba420, v47, -v1
	v_mul_f32_e32 v5, 0x3eb8f4ab, v45
	v_add_f32_e32 v44, v44, v15
	v_add_f32_e32 v1, v4, v25
	v_fma_f32 v4, 0x3f6eb680, v46, -v6
	v_add_f32_e32 v2, v2, v8
	v_add_f32_e32 v3, v3, v7
	v_mul_f32_e32 v15, 0xbf06c442, v43
	v_fmamk_f32 v7, v47, 0x3f6eb680, v5
	v_fma_f32 v8, 0x3f6eb680, v47, -v5
	v_add_f32_e32 v4, v4, v11
	v_fmac_f32_e32 v6, 0x3f6eb680, v46
	v_fma_f32 v9, 0xbf59a7d5, v46, -v15
	v_mul_f32_e32 v11, 0xbf06c442, v45
	v_add_f32_e32 v5, v7, v16
	v_add_f32_e32 v7, v8, v17
	v_mul_f32_e32 v16, 0x3f2c7751, v43
	v_fmac_f32_e32 v15, 0xbf59a7d5, v46
	v_mul_f32_e32 v17, 0x3f2c7751, v45
	v_add_f32_e32 v40, v40, v24
	v_add_f32_e32 v6, v6, v10
	v_add_f32_e32 v8, v9, v27
	v_fmamk_f32 v9, v47, 0xbf59a7d5, v11
	v_fma_f32 v11, 0xbf59a7d5, v47, -v11
	v_fma_f32 v24, 0x3f3d2fb0, v46, -v16
	v_add_f32_e32 v10, v15, v14
	v_fmamk_f32 v15, v47, 0x3f3d2fb0, v17
	v_mul_f32_e32 v25, 0xbf4c4adb, v43
	v_add_f32_e32 v9, v9, v26
	v_add_f32_e32 v11, v11, v28
	;; [unrolled: 1-line block ×3, first 2 shown]
	v_fmac_f32_e32 v16, 0x3f3d2fb0, v46
	v_fma_f32 v17, 0x3f3d2fb0, v47, -v17
	v_add_f32_e32 v15, v15, v18
	v_fma_f32 v18, 0xbf1a4643, v46, -v25
	v_mul_f32_e32 v24, 0xbf4c4adb, v45
	v_mul_f32_e32 v26, 0x3f65296c, v43
	v_fmac_f32_e32 v25, 0xbf1a4643, v46
	v_mul_f32_e32 v28, 0x3f65296c, v45
	v_add_f32_e32 v23, v49, v23
	v_add_f32_e32 v16, v16, v19
	;; [unrolled: 1-line block ×4, first 2 shown]
	v_fmamk_f32 v19, v47, 0xbf1a4643, v24
	v_fma_f32 v24, 0xbf1a4643, v47, -v24
	v_fma_f32 v27, 0x3ee437d1, v46, -v26
	v_add_f32_e32 v20, v25, v30
	v_mul_f32_e32 v29, 0xbf763a35, v43
	v_fma_f32 v25, 0x3ee437d1, v47, -v28
	v_add_f32_e32 v19, v19, v21
	v_add_f32_e32 v21, v24, v22
	v_add_f32_e32 v22, v27, v23
	v_mul_f32_e32 v30, 0xbf763a35, v45
	v_fmac_f32_e32 v26, 0x3ee437d1, v46
	v_fma_f32 v27, 0xbe8c1d8e, v46, -v29
	v_add_f32_e32 v25, v25, v33
	v_mul_f32_e32 v33, 0x3f7ee86f, v43
	v_fmamk_f32 v23, v47, 0x3ee437d1, v28
	v_fmamk_f32 v28, v47, 0xbe8c1d8e, v30
	v_add_f32_e32 v24, v26, v31
	v_add_f32_e32 v26, v27, v32
	v_fmac_f32_e32 v29, 0xbe8c1d8e, v46
	v_fma_f32 v30, 0xbe8c1d8e, v47, -v30
	v_fma_f32 v31, 0x3dbcf732, v46, -v33
	v_and_b32_e32 v32, 0xff, v34
	v_add_f32_e32 v27, v28, v42
	v_add_f32_e32 v28, v29, v37
	v_add_f32_e32 v29, v30, v39
	v_add_f32_e32 v30, v31, v41
	v_mul_lo_u16 v31, 0xf1, v32
	v_add_f32_e32 v23, v23, v36
	v_mul_f32_e32 v36, 0x3f7ee86f, v45
	v_fmac_f32_e32 v33, 0x3dbcf732, v46
	v_mul_lo_u16 v39, v34, 17
	v_lshrrev_b16 v32, 12, v31
	v_mov_b32_e32 v41, 3
	v_fmamk_f32 v37, v47, 0x3dbcf732, v36
	v_fma_f32 v38, 0x3dbcf732, v47, -v36
	v_add_f32_e32 v36, v33, v40
	v_mul_lo_u16 v33, v32, 17
	v_lshlrev_b32_sdwa v134, v41, v39 dst_sel:DWORD dst_unused:UNUSED_PAD src0_sel:DWORD src1_sel:WORD_0
	v_add_f32_e32 v31, v37, v44
	v_add_f32_e32 v37, v38, v48
	ds_write2_b64 v134, v[12:13], v[0:1] offset1:1
	ds_write2_b64 v134, v[4:5], v[8:9] offset0:2 offset1:3
	ds_write2_b64 v134, v[14:15], v[18:19] offset0:4 offset1:5
	;; [unrolled: 1-line block ×3, first 2 shown]
	v_sub_nc_u16 v33, v34, v33
	ds_write2_b64 v134, v[30:31], v[36:37] offset0:8 offset1:9
	ds_write2_b64 v134, v[28:29], v[24:25] offset0:10 offset1:11
	;; [unrolled: 1-line block ×4, first 2 shown]
	ds_write_b64 v134, v[2:3] offset:128
	s_waitcnt lgkmcnt(0)
	s_barrier
	v_and_b32_e32 v33, 0xff, v33
	buffer_gl0_inv
	v_lshlrev_b32_e32 v24, 7, v33
	s_clause 0x7
	global_load_dwordx4 v[28:31], v24, s[2:3]
	global_load_dwordx4 v[20:23], v24, s[2:3] offset:16
	global_load_dwordx4 v[16:19], v24, s[2:3] offset:32
	;; [unrolled: 1-line block ×7, first 2 shown]
	ds_read2_b64 v[36:39], v129 offset0:102 offset1:153
	ds_read2_b64 v[40:43], v129 offset0:204 offset1:255
	;; [unrolled: 1-line block ×5, first 2 shown]
	s_waitcnt vmcnt(7) lgkmcnt(4)
	v_mul_f32_e32 v48, v37, v31
	v_mul_f32_e32 v52, v36, v31
	s_waitcnt vmcnt(6)
	v_mul_f32_e32 v49, v39, v21
	v_mul_f32_e32 v139, v38, v21
	s_waitcnt lgkmcnt(3)
	v_mul_f32_e32 v35, v41, v23
	v_fma_f32 v53, v36, v30, -v48
	s_waitcnt vmcnt(5)
	v_mul_f32_e32 v36, v43, v17
	v_fmac_f32_e32 v52, v37, v30
	v_fma_f32 v137, v38, v20, -v49
	v_mul_f32_e32 v51, v40, v23
	v_mul_f32_e32 v62, v42, v17
	v_fmac_f32_e32 v139, v39, v20
	v_fma_f32 v54, v40, v22, -v35
	v_fma_f32 v61, v42, v16, -v36
	s_waitcnt lgkmcnt(2)
	v_mul_f32_e32 v39, v45, v19
	v_mul_f32_e32 v67, v44, v19
	s_waitcnt vmcnt(4)
	v_mul_f32_e32 v40, v47, v1
	v_mul_f32_e32 v76, v46, v1
	ds_read2_b64 v[35:38], v136 offset0:100 offset1:151
	v_fmac_f32_e32 v62, v43, v16
	v_fma_f32 v68, v44, v18, -v39
	v_fmac_f32_e32 v67, v45, v18
	v_fma_f32 v75, v46, v0, -v40
	s_waitcnt lgkmcnt(2)
	v_mul_f32_e32 v39, v56, v3
	v_fmac_f32_e32 v76, v47, v0
	s_waitcnt vmcnt(3)
	v_mul_f32_e32 v40, v58, v13
	ds_read_b64 v[47:48], v129 offset:6528
	ds_read2_b64 v[43:46], v129 offset1:51
	v_fmac_f32_e32 v51, v41, v22
	v_fma_f32 v121, v55, v2, -v39
	v_fma_f32 v123, v57, v12, -v40
	ds_read2_b64 v[39:42], v136 offset0:202 offset1:253
	s_waitcnt lgkmcnt(4)
	v_mul_f32_e32 v49, v64, v15
	s_waitcnt vmcnt(2)
	v_mul_f32_e32 v50, v66, v9
	v_mul_f32_e32 v81, v65, v9
	;; [unrolled: 1-line block ×4, first 2 shown]
	v_fma_f32 v133, v63, v14, -v49
	v_fma_f32 v83, v65, v8, -v50
	s_waitcnt lgkmcnt(3)
	v_mul_f32_e32 v49, v36, v11
	v_mul_f32_e32 v73, v35, v11
	s_waitcnt vmcnt(1)
	v_mul_f32_e32 v50, v38, v5
	v_fmac_f32_e32 v81, v66, v8
	v_mul_f32_e32 v65, v37, v5
	v_fma_f32 v74, v35, v10, -v49
	v_fmac_f32_e32 v73, v36, v10
	s_waitcnt vmcnt(0) lgkmcnt(2)
	v_mul_f32_e32 v124, v47, v27
	v_fma_f32 v66, v37, v4, -v50
	s_waitcnt lgkmcnt(1)
	v_mul_f32_e32 v35, v45, v29
	v_mul_f32_e32 v36, v48, v27
	;; [unrolled: 1-line block ×3, first 2 shown]
	v_fmac_f32_e32 v65, v38, v4
	v_fmac_f32_e32 v124, v48, v26
	;; [unrolled: 1-line block ×3, first 2 shown]
	s_waitcnt lgkmcnt(0)
	v_mul_f32_e32 v38, v40, v7
	v_fma_f32 v128, v47, v26, -v36
	v_fma_f32 v36, v45, v28, -v37
	v_fmac_f32_e32 v82, v56, v2
	v_fmac_f32_e32 v122, v58, v12
	v_mul_f32_e32 v57, v39, v7
	v_sub_f32_e32 v37, v35, v124
	v_fma_f32 v58, v39, v6, -v38
	v_add_f32_e32 v39, v36, v128
	v_sub_f32_e32 v56, v36, v128
	v_add_f32_e32 v60, v35, v124
	v_add_f32_e32 v36, v43, v36
	;; [unrolled: 1-line block ×3, first 2 shown]
	v_mul_f32_e32 v38, v42, v25
	v_mul_f32_e32 v145, v41, v25
	;; [unrolled: 1-line block ×3, first 2 shown]
	v_add_f32_e32 v36, v36, v53
	v_add_f32_e32 v35, v35, v52
	v_fma_f32 v146, v41, v24, -v38
	v_mul_f32_e32 v38, 0xbf2c7751, v37
	v_mul_f32_e32 v45, 0xbeb8f4ab, v37
	v_add_f32_e32 v36, v36, v137
	v_add_f32_e32 v35, v35, v139
	v_fmac_f32_e32 v145, v42, v24
	v_mul_f32_e32 v41, 0xbf65296c, v37
	v_fma_f32 v42, 0x3f3d2fb0, v39, -v38
	v_add_f32_e32 v36, v36, v54
	v_add_f32_e32 v35, v35, v51
	v_mul_f32_e32 v46, 0xbf7ee86f, v37
	v_fmac_f32_e32 v38, 0x3f3d2fb0, v39
	v_mul_f32_e32 v47, 0xbf763a35, v37
	v_add_f32_e32 v36, v36, v61
	v_add_f32_e32 v35, v35, v62
	v_mul_f32_e32 v55, 0xbf4c4adb, v37
	v_mul_f32_e32 v138, 0xbf06c442, v37
	;; [unrolled: 1-line block ×3, first 2 shown]
	v_add_f32_e32 v36, v36, v68
	v_add_f32_e32 v35, v35, v67
	v_mul_f32_e32 v63, 0xbeb8f4ab, v56
	v_fmac_f32_e32 v57, v40, v6
	v_fma_f32 v40, 0x3f6eb680, v39, -v45
	v_add_f32_e32 v36, v36, v75
	v_add_f32_e32 v35, v35, v76
	v_fmac_f32_e32 v45, 0x3f6eb680, v39
	v_fma_f32 v48, 0x3ee437d1, v39, -v41
	v_fmac_f32_e32 v41, 0x3ee437d1, v39
	v_fma_f32 v49, 0x3dbcf732, v39, -v46
	;; [unrolled: 2-line block ×6, first 2 shown]
	v_fmac_f32_e32 v37, 0xbf7ba420, v39
	v_fmamk_f32 v39, v60, 0x3f6eb680, v63
	v_add_f32_e32 v80, v43, v38
	v_add_f32_e32 v36, v36, v121
	;; [unrolled: 1-line block ×3, first 2 shown]
	v_fmac_f32_e32 v125, v64, v14
	v_add_f32_e32 v159, v44, v39
	v_mul_f32_e32 v64, 0xbf2c7751, v56
	v_add_f32_e32 v39, v36, v123
	v_add_f32_e32 v38, v38, v122
	v_mul_f32_e32 v71, 0xbf7ee86f, v56
	v_mul_f32_e32 v72, 0xbf763a35, v56
	;; [unrolled: 1-line block ×3, first 2 shown]
	v_add_f32_e32 v39, v39, v133
	v_add_f32_e32 v38, v38, v125
	v_fmamk_f32 v70, v60, 0x3f3d2fb0, v64
	v_fmamk_f32 v148, v60, 0x3dbcf732, v71
	v_fma_f32 v149, 0x3dbcf732, v60, -v71
	v_add_f32_e32 v39, v39, v83
	v_add_f32_e32 v38, v38, v81
	v_fmamk_f32 v150, v60, 0xbe8c1d8e, v72
	v_mul_f32_e32 v71, 0xbf4c4adb, v56
	v_fma_f32 v151, 0xbe8c1d8e, v60, -v72
	v_mul_f32_e32 v72, 0xbf06c442, v56
	v_mul_f32_e32 v56, 0xbe3c28d5, v56
	v_add_f32_e32 v39, v39, v74
	v_add_f32_e32 v38, v38, v73
	v_fma_f32 v63, 0x3f6eb680, v60, -v63
	v_fma_f32 v64, 0x3f3d2fb0, v60, -v64
	v_fmamk_f32 v77, v60, 0x3ee437d1, v69
	v_fma_f32 v69, 0x3ee437d1, v60, -v69
	v_fmamk_f32 v152, v60, 0xbf1a4643, v71
	;; [unrolled: 2-line block ×4, first 2 shown]
	v_fma_f32 v157, 0xbf7ba420, v60, -v56
	v_add_f32_e32 v158, v43, v40
	v_add_f32_e32 v127, v43, v45
	;; [unrolled: 1-line block ×7, first 2 shown]
	v_sub_f32_e32 v46, v52, v145
	v_add_f32_e32 v126, v44, v63
	v_add_f32_e32 v143, v43, v42
	;; [unrolled: 1-line block ×26, first 2 shown]
	v_sub_f32_e32 v45, v53, v146
	v_add_f32_e32 v44, v37, v57
	v_add_f32_e32 v38, v53, v146
	v_mul_f32_e32 v138, 0xbf2c7751, v46
	v_add_f32_e32 v37, v52, v145
	v_mul_f32_e32 v140, 0xbf2c7751, v45
	v_add_f32_e32 v149, v44, v145
	v_sub_f32_e32 v53, v139, v57
	v_fma_f32 v44, 0x3f3d2fb0, v38, -v138
	v_sub_f32_e32 v52, v137, v58
	v_add_f32_e32 v150, v43, v146
	v_fmamk_f32 v147, v37, 0x3f3d2fb0, v140
	v_add_f32_e32 v43, v137, v58
	v_mul_f32_e32 v145, 0xbf65296c, v53
	v_add_f32_e32 v137, v44, v158
	v_add_f32_e32 v44, v139, v57
	v_mul_f32_e32 v146, 0xbf65296c, v52
	v_sub_f32_e32 v58, v51, v65
	v_add_f32_e32 v139, v147, v159
	v_fma_f32 v151, 0x3ee437d1, v43, -v145
	v_sub_f32_e32 v57, v54, v66
	v_fmamk_f32 v152, v44, 0x3ee437d1, v146
	v_add_f32_e32 v54, v54, v66
	v_mul_f32_e32 v147, 0xbf7ee86f, v58
	v_add_f32_e32 v51, v51, v65
	v_mul_f32_e32 v148, 0xbf7ee86f, v57
	v_add_f32_e32 v137, v151, v137
	v_add_f32_e32 v139, v152, v139
	v_sub_f32_e32 v66, v62, v73
	v_fma_f32 v152, 0x3dbcf732, v54, -v147
	v_sub_f32_e32 v65, v61, v74
	v_fmamk_f32 v153, v51, 0x3dbcf732, v148
	v_add_f32_e32 v61, v61, v74
	v_mul_f32_e32 v151, 0xbf763a35, v66
	v_add_f32_e32 v137, v152, v137
	v_add_f32_e32 v62, v62, v73
	v_mul_f32_e32 v152, 0xbf763a35, v65
	v_sub_f32_e32 v74, v67, v81
	v_sub_f32_e32 v73, v68, v83
	v_add_f32_e32 v139, v153, v139
	v_fma_f32 v153, 0xbe8c1d8e, v61, -v151
	v_fmamk_f32 v154, v62, 0xbe8c1d8e, v152
	v_add_f32_e32 v67, v67, v81
	v_add_f32_e32 v68, v68, v83
	v_mul_f32_e32 v155, 0xbf4c4adb, v74
	v_mul_f32_e32 v156, 0xbf4c4adb, v73
	v_add_f32_e32 v137, v153, v137
	v_add_f32_e32 v139, v154, v139
	v_sub_f32_e32 v83, v76, v125
	v_fma_f32 v153, 0xbf1a4643, v68, -v155
	v_fmamk_f32 v154, v67, 0xbf1a4643, v156
	v_sub_f32_e32 v81, v75, v133
	v_add_f32_e32 v75, v75, v133
	v_mul_f32_e32 v157, 0xbf06c442, v83
	v_add_f32_e32 v133, v153, v137
	v_add_f32_e32 v76, v76, v125
	v_mul_f32_e32 v153, 0xbf06c442, v81
	v_add_f32_e32 v154, v154, v139
	v_sub_f32_e32 v139, v82, v122
	v_sub_f32_e32 v137, v121, v123
	v_fma_f32 v158, 0xbf59a7d5, v75, -v157
	v_fmamk_f32 v159, v76, 0xbf59a7d5, v153
	v_add_f32_e32 v82, v82, v122
	v_add_f32_e32 v125, v121, v123
	v_mul_f32_e32 v160, 0xbe3c28d5, v139
	v_mul_f32_e32 v161, 0xbe3c28d5, v137
	v_add_f32_e32 v121, v150, v128
	v_add_f32_e32 v123, v158, v133
	;; [unrolled: 1-line block ×3, first 2 shown]
	v_fma_f32 v133, 0xbf7ba420, v125, -v160
	v_fmamk_f32 v150, v82, 0xbf7ba420, v161
	v_add_f32_e32 v122, v149, v124
	v_mul_f32_e32 v149, 0xbf7ee86f, v46
	v_mul_f32_e32 v154, 0xbf7ee86f, v45
	v_add_f32_e32 v123, v133, v123
	v_add_f32_e32 v124, v150, v128
	v_mov_b32_e32 v128, 0x121
	v_fma_f32 v133, 0x3dbcf732, v38, -v149
	v_fmamk_f32 v150, v37, 0x3dbcf732, v154
	v_mul_f32_e32 v158, 0xbf4c4adb, v53
	v_mul_f32_e32 v159, 0xbf4c4adb, v52
	v_mul_u32_u24_sdwa v32, v32, v128 dst_sel:DWORD dst_unused:UNUSED_PAD src0_sel:WORD_0 src1_sel:DWORD
	v_add_f32_e32 v128, v133, v143
	v_add_f32_e32 v143, v150, v144
	v_fma_f32 v144, 0xbf1a4643, v43, -v158
	v_fmamk_f32 v150, v44, 0xbf1a4643, v159
	v_mul_f32_e32 v162, 0xbe3c28d5, v58
	v_mul_f32_e32 v163, 0xbe3c28d5, v57
	v_add_lshl_u32 v133, v32, v33, 3
	v_add_f32_e32 v32, v144, v128
	v_add_f32_e32 v33, v150, v143
	v_fma_f32 v128, 0xbf7ba420, v54, -v162
	v_fmamk_f32 v143, v51, 0xbf7ba420, v163
	v_mul_f32_e32 v144, 0x3f06c442, v66
	v_mul_f32_e32 v150, 0x3f06c442, v65
	;; [unrolled: 1-line block ×3, first 2 shown]
	v_add_f32_e32 v32, v128, v32
	v_add_f32_e32 v33, v143, v33
	v_fma_f32 v128, 0xbf59a7d5, v61, -v144
	v_fmamk_f32 v143, v62, 0xbf59a7d5, v150
	v_mul_f32_e32 v165, 0x3f763a35, v73
	v_mul_f32_e32 v166, 0x3f65296c, v83
	;; [unrolled: 1-line block ×3, first 2 shown]
	v_add_f32_e32 v32, v128, v32
	v_add_f32_e32 v33, v143, v33
	v_fma_f32 v128, 0xbe8c1d8e, v68, -v164
	v_fmamk_f32 v143, v67, 0xbe8c1d8e, v165
	v_mul_f32_e32 v168, 0xbf4c4adb, v46
	s_barrier
	buffer_gl0_inv
	v_add_f32_e32 v32, v128, v32
	v_add_f32_e32 v33, v143, v33
	v_fma_f32 v128, 0x3ee437d1, v75, -v166
	v_fmamk_f32 v143, v76, 0x3ee437d1, v167
	v_mul_f32_e32 v169, 0xbf4c4adb, v45
	ds_write2_b64 v133, v[121:122], v[123:124] offset1:17
	v_fma_f32 v121, 0xbf1a4643, v38, -v168
	v_mul_f32_e32 v123, 0x3e3c28d5, v53
	v_add_f32_e32 v32, v128, v32
	v_add_f32_e32 v33, v143, v33
	v_fmamk_f32 v122, v37, 0xbf1a4643, v169
	v_mul_f32_e32 v124, 0x3e3c28d5, v52
	v_mul_f32_e32 v128, 0x3eb8f4ab, v139
	v_add_f32_e32 v121, v121, v141
	v_fma_f32 v141, 0xbf7ba420, v43, -v123
	v_mul_f32_e32 v143, 0x3f763a35, v58
	v_add_f32_e32 v122, v122, v142
	v_fmamk_f32 v142, v44, 0xbf7ba420, v124
	v_mul_f32_e32 v170, 0x3f763a35, v57
	v_fma_f32 v171, 0x3f6eb680, v125, -v128
	v_add_f32_e32 v121, v141, v121
	v_fma_f32 v141, 0xbe8c1d8e, v54, -v143
	v_mul_f32_e32 v172, 0x3f2c7751, v66
	v_add_f32_e32 v122, v142, v122
	v_fmamk_f32 v142, v51, 0xbe8c1d8e, v170
	v_mul_f32_e32 v173, 0x3f2c7751, v65
	v_add_f32_e32 v32, v171, v32
	v_add_f32_e32 v121, v141, v121
	v_fma_f32 v141, 0x3f3d2fb0, v61, -v172
	v_mul_f32_e32 v171, 0xbeb8f4ab, v74
	v_add_f32_e32 v122, v142, v122
	v_fmamk_f32 v142, v62, 0x3f3d2fb0, v173
	v_mul_f32_e32 v174, 0xbeb8f4ab, v73
	v_add_f32_e32 v121, v141, v121
	v_fma_f32 v141, 0x3f6eb680, v68, -v171
	v_mul_f32_e32 v176, 0xbf7ee86f, v83
	v_add_f32_e32 v122, v142, v122
	v_fmamk_f32 v142, v67, 0x3f6eb680, v174
	v_mul_f32_e32 v177, 0xbf7ee86f, v81
	v_add_f32_e32 v121, v141, v121
	v_fma_f32 v141, 0x3dbcf732, v75, -v176
	v_fmac_f32_e32 v138, 0x3f3d2fb0, v38
	v_fma_f32 v140, 0x3f3d2fb0, v37, -v140
	v_mul_f32_e32 v175, 0x3eb8f4ab, v137
	v_add_f32_e32 v122, v142, v122
	v_fmamk_f32 v142, v76, 0x3dbcf732, v177
	v_add_f32_e32 v121, v141, v121
	v_add_f32_e32 v127, v138, v127
	v_fmac_f32_e32 v145, 0x3ee437d1, v43
	v_add_f32_e32 v126, v140, v126
	v_fma_f32 v138, 0x3ee437d1, v44, -v146
	v_mul_f32_e32 v140, 0xbf06c442, v139
	v_mul_f32_e32 v141, 0xbf06c442, v137
	v_fmamk_f32 v178, v82, 0x3f6eb680, v175
	v_add_f32_e32 v122, v142, v122
	v_add_f32_e32 v127, v145, v127
	v_fmac_f32_e32 v147, 0x3dbcf732, v54
	v_add_f32_e32 v126, v138, v126
	v_fma_f32 v138, 0x3dbcf732, v51, -v148
	v_fma_f32 v142, 0xbf59a7d5, v125, -v140
	v_fmamk_f32 v145, v82, 0xbf59a7d5, v141
	v_add_f32_e32 v33, v178, v33
	v_add_f32_e32 v127, v147, v127
	v_fmac_f32_e32 v151, 0xbe8c1d8e, v61
	v_add_f32_e32 v126, v138, v126
	v_fma_f32 v138, 0xbe8c1d8e, v62, -v152
	v_add_f32_e32 v121, v142, v121
	v_add_f32_e32 v122, v145, v122
	v_fmac_f32_e32 v149, 0x3dbcf732, v38
	v_add_f32_e32 v127, v151, v127
	v_fmac_f32_e32 v155, 0xbf1a4643, v68
	v_add_f32_e32 v126, v138, v126
	v_fma_f32 v138, 0xbf1a4643, v67, -v156
	ds_write2_b64 v133, v[32:33], v[121:122] offset0:34 offset1:51
	v_fma_f32 v121, 0x3dbcf732, v37, -v154
	v_add_f32_e32 v80, v149, v80
	v_fmac_f32_e32 v158, 0xbf1a4643, v43
	v_add_f32_e32 v32, v155, v127
	v_fmac_f32_e32 v157, 0xbf59a7d5, v75
	v_add_f32_e32 v33, v138, v126
	v_fma_f32 v122, 0xbf59a7d5, v76, -v153
	v_add_f32_e32 v79, v121, v79
	v_fma_f32 v121, 0xbf1a4643, v44, -v159
	v_add_f32_e32 v80, v158, v80
	v_fmac_f32_e32 v162, 0xbf7ba420, v54
	v_add_f32_e32 v32, v157, v32
	v_add_f32_e32 v33, v122, v33
	v_fmac_f32_e32 v160, 0xbf7ba420, v125
	v_add_f32_e32 v79, v121, v79
	v_fma_f32 v122, 0xbf7ba420, v51, -v163
	v_add_f32_e32 v80, v162, v80
	v_fmac_f32_e32 v144, 0xbf59a7d5, v61
	v_fma_f32 v126, 0xbf7ba420, v82, -v161
	v_add_f32_e32 v121, v160, v32
	v_add_f32_e32 v32, v122, v79
	v_fma_f32 v79, 0xbf59a7d5, v62, -v150
	v_add_f32_e32 v80, v144, v80
	v_fmac_f32_e32 v164, 0xbe8c1d8e, v68
	v_fmac_f32_e32 v168, 0xbf1a4643, v38
	v_add_f32_e32 v122, v126, v33
	v_add_f32_e32 v32, v79, v32
	v_fma_f32 v33, 0xbe8c1d8e, v67, -v165
	v_add_f32_e32 v79, v164, v80
	v_fma_f32 v80, 0xbf1a4643, v37, -v169
	v_add_f32_e32 v78, v168, v78
	v_fmac_f32_e32 v123, 0xbf7ba420, v43
	v_add_f32_e32 v32, v33, v32
	v_fmac_f32_e32 v143, 0xbe8c1d8e, v54
	v_add_f32_e32 v33, v80, v77
	v_fma_f32 v77, 0xbf7ba420, v44, -v124
	v_add_f32_e32 v78, v123, v78
	v_fmac_f32_e32 v166, 0x3ee437d1, v75
	v_fmac_f32_e32 v172, 0x3f3d2fb0, v61
	v_fma_f32 v80, 0x3ee437d1, v76, -v167
	v_add_f32_e32 v33, v77, v33
	v_fma_f32 v77, 0xbe8c1d8e, v51, -v170
	v_add_f32_e32 v78, v143, v78
	v_add_f32_e32 v79, v166, v79
	v_fmac_f32_e32 v128, 0x3f6eb680, v125
	v_fmac_f32_e32 v171, 0x3f6eb680, v68
	v_add_f32_e32 v33, v77, v33
	v_fma_f32 v77, 0x3f3d2fb0, v62, -v173
	v_add_f32_e32 v78, v172, v78
	v_add_f32_e32 v32, v80, v32
	v_fma_f32 v80, 0x3f6eb680, v82, -v175
	v_add_f32_e32 v123, v128, v79
	;; [unrolled: 3-line block ×3, first 2 shown]
	v_fmac_f32_e32 v176, 0x3dbcf732, v75
	v_mul_f32_e32 v79, 0xbe3c28d5, v46
	v_add_f32_e32 v124, v80, v32
	v_add_f32_e32 v32, v77, v33
	v_fma_f32 v33, 0x3dbcf732, v76, -v177
	v_add_f32_e32 v77, v176, v78
	v_fma_f32 v78, 0xbf7ba420, v38, -v79
	v_mul_f32_e32 v80, 0xbe3c28d5, v45
	v_mul_f32_e32 v126, 0x3f763a35, v53
	v_add_f32_e32 v33, v33, v32
	v_mul_f32_e32 v127, 0x3f763a35, v52
	v_add_f32_e32 v32, v78, v72
	v_fmamk_f32 v72, v37, 0xbf7ba420, v80
	v_fma_f32 v78, 0xbe8c1d8e, v43, -v126
	v_fmac_f32_e32 v140, 0xbf59a7d5, v125
	v_mul_f32_e32 v128, 0x3eb8f4ab, v58
	v_mul_f32_e32 v142, 0x3eb8f4ab, v57
	v_add_f32_e32 v71, v72, v71
	v_add_f32_e32 v72, v78, v32
	v_fmamk_f32 v78, v44, 0xbe8c1d8e, v127
	v_fma_f32 v138, 0xbf59a7d5, v82, -v141
	v_fma_f32 v141, 0x3f6eb680, v54, -v128
	v_mul_f32_e32 v143, 0xbf65296c, v66
	v_add_f32_e32 v32, v140, v77
	v_add_f32_e32 v71, v78, v71
	v_fmamk_f32 v77, v51, 0x3f6eb680, v142
	v_mul_f32_e32 v140, 0xbf65296c, v65
	v_add_f32_e32 v72, v141, v72
	v_fma_f32 v78, 0x3ee437d1, v61, -v143
	v_mul_f32_e32 v141, 0xbf06c442, v74
	v_add_f32_e32 v33, v138, v33
	v_add_f32_e32 v71, v77, v71
	v_fmamk_f32 v77, v62, 0x3ee437d1, v140
	v_mul_f32_e32 v138, 0xbf06c442, v73
	v_add_f32_e32 v72, v78, v72
	v_fma_f32 v78, 0xbf59a7d5, v68, -v141
	v_mul_f32_e32 v144, 0x3f4c4adb, v83
	v_fmac_f32_e32 v79, 0xbf7ba420, v38
	v_add_f32_e32 v71, v77, v71
	v_fmamk_f32 v77, v67, 0xbf59a7d5, v138
	v_add_f32_e32 v72, v78, v72
	v_fma_f32 v78, 0xbf1a4643, v75, -v144
	v_add_f32_e32 v70, v79, v70
	v_fma_f32 v79, 0xbf7ba420, v37, -v80
	v_fmac_f32_e32 v126, 0xbe8c1d8e, v43
	v_add_f32_e32 v71, v77, v71
	v_mul_f32_e32 v77, 0x3f4c4adb, v81
	v_add_f32_e32 v72, v78, v72
	v_add_f32_e32 v69, v79, v69
	;; [unrolled: 1-line block ×3, first 2 shown]
	v_fma_f32 v78, 0xbe8c1d8e, v44, -v127
	v_fmac_f32_e32 v128, 0x3f6eb680, v54
	v_fmamk_f32 v79, v76, 0xbf1a4643, v77
	v_mul_f32_e32 v80, 0x3f2c7751, v139
	v_mul_f32_e32 v126, 0x3f2c7751, v137
	v_add_f32_e32 v69, v78, v69
	v_add_f32_e32 v70, v128, v70
	v_fma_f32 v78, 0x3f6eb680, v51, -v142
	v_fmac_f32_e32 v143, 0x3ee437d1, v61
	v_add_f32_e32 v71, v79, v71
	v_fma_f32 v79, 0x3f3d2fb0, v125, -v80
	v_fmamk_f32 v127, v82, 0x3f3d2fb0, v126
	v_add_f32_e32 v78, v78, v69
	v_add_f32_e32 v128, v143, v70
	v_fma_f32 v140, 0x3ee437d1, v62, -v140
	v_fmac_f32_e32 v141, 0xbf59a7d5, v68
	v_add_f32_e32 v69, v79, v72
	v_mul_f32_e32 v79, 0x3f06c442, v46
	v_add_f32_e32 v70, v127, v71
	v_add_f32_e32 v71, v140, v78
	;; [unrolled: 1-line block ×3, first 2 shown]
	v_fma_f32 v78, 0xbf59a7d5, v67, -v138
	v_fma_f32 v127, 0xbf59a7d5, v38, -v79
	v_mul_f32_e32 v128, 0x3f06c442, v45
	v_mul_f32_e32 v138, 0x3f2c7751, v53
	;; [unrolled: 1-line block ×3, first 2 shown]
	v_add_f32_e32 v71, v78, v71
	v_add_f32_e32 v64, v127, v64
	v_fmamk_f32 v78, v37, 0xbf59a7d5, v128
	v_fma_f32 v127, 0x3f3d2fb0, v43, -v138
	v_mul_f32_e32 v141, 0xbf65296c, v58
	v_fmac_f32_e32 v144, 0xbf1a4643, v75
	v_fma_f32 v77, 0xbf1a4643, v76, -v77
	v_add_f32_e32 v63, v78, v63
	v_add_f32_e32 v64, v127, v64
	v_fmamk_f32 v78, v44, 0x3f3d2fb0, v140
	v_fma_f32 v127, 0x3ee437d1, v54, -v141
	v_mul_f32_e32 v142, 0xbf65296c, v57
	v_mul_f32_e32 v143, 0xbe3c28d5, v66
	v_add_f32_e32 v72, v144, v72
	v_add_f32_e32 v71, v77, v71
	;; [unrolled: 1-line block ×4, first 2 shown]
	v_fmamk_f32 v77, v51, 0x3ee437d1, v142
	v_fma_f32 v78, 0xbf7ba420, v61, -v143
	v_mul_f32_e32 v127, 0xbe3c28d5, v65
	v_mul_f32_e32 v144, 0x3f7ee86f, v74
	;; [unrolled: 1-line block ×3, first 2 shown]
	v_add_f32_e32 v63, v77, v63
	v_add_f32_e32 v64, v78, v64
	v_fmamk_f32 v77, v62, 0xbf7ba420, v127
	v_fma_f32 v78, 0x3dbcf732, v68, -v144
	v_mul_f32_e32 v146, 0xbeb8f4ab, v83
	v_fmac_f32_e32 v80, 0x3f3d2fb0, v125
	v_mul_f32_e32 v148, 0xbeb8f4ab, v81
	v_add_f32_e32 v77, v77, v63
	v_add_f32_e32 v64, v78, v64
	v_fmamk_f32 v78, v67, 0x3dbcf732, v145
	v_fma_f32 v147, 0x3f6eb680, v75, -v146
	v_mul_f32_e32 v149, 0xbf4c4adb, v139
	v_fma_f32 v126, 0x3f3d2fb0, v82, -v126
	v_add_f32_e32 v63, v80, v72
	v_add_f32_e32 v72, v78, v77
	;; [unrolled: 1-line block ×3, first 2 shown]
	v_fmamk_f32 v78, v76, 0x3f6eb680, v148
	v_fma_f32 v80, 0xbf1a4643, v125, -v149
	v_mul_f32_e32 v147, 0x3f763a35, v46
	v_mul_f32_e32 v150, 0x3f763a35, v45
	v_add_f32_e32 v64, v126, v71
	v_add_f32_e32 v72, v78, v72
	;; [unrolled: 1-line block ×3, first 2 shown]
	v_fma_f32 v77, 0xbe8c1d8e, v38, -v147
	v_fmamk_f32 v78, v37, 0xbe8c1d8e, v150
	v_mul_f32_e32 v80, 0xbeb8f4ab, v53
	v_mul_f32_e32 v126, 0xbeb8f4ab, v52
	;; [unrolled: 1-line block ×3, first 2 shown]
	v_add_f32_e32 v59, v77, v59
	v_add_f32_e32 v60, v78, v60
	v_fma_f32 v77, 0x3f6eb680, v43, -v80
	v_fmamk_f32 v78, v44, 0x3f6eb680, v126
	v_mul_f32_e32 v154, 0xbf06c442, v57
	v_mul_f32_e32 v151, 0xbf4c4adb, v137
	v_fmac_f32_e32 v147, 0xbe8c1d8e, v38
	v_add_f32_e32 v59, v77, v59
	v_add_f32_e32 v60, v78, v60
	v_fma_f32 v77, 0xbf59a7d5, v54, -v152
	v_mul_f32_e32 v78, 0x3f7ee86f, v66
	v_fmamk_f32 v155, v51, 0xbf59a7d5, v154
	v_fmamk_f32 v153, v82, 0xbf1a4643, v151
	v_mul_f32_e32 v156, 0x3f7ee86f, v65
	v_add_f32_e32 v59, v77, v59
	v_fma_f32 v77, 0x3dbcf732, v61, -v78
	v_add_f32_e32 v60, v155, v60
	v_mul_f32_e32 v155, 0xbf2c7751, v74
	v_mul_f32_e32 v158, 0xbe3c28d5, v83
	v_add_f32_e32 v56, v147, v56
	v_add_f32_e32 v59, v77, v59
	v_fma_f32 v147, 0xbe8c1d8e, v37, -v150
	v_fma_f32 v77, 0x3f3d2fb0, v68, -v155
	v_fmac_f32_e32 v80, 0x3f6eb680, v43
	v_add_f32_e32 v72, v153, v72
	v_fmamk_f32 v153, v62, 0x3dbcf732, v156
	v_mul_f32_e32 v157, 0xbf2c7751, v73
	v_add_f32_e32 v59, v77, v59
	v_fma_f32 v77, 0xbf7ba420, v75, -v158
	v_add_f32_e32 v55, v147, v55
	v_add_f32_e32 v56, v80, v56
	v_fma_f32 v80, 0x3f6eb680, v44, -v126
	v_fmac_f32_e32 v152, 0xbf59a7d5, v54
	v_add_f32_e32 v60, v153, v60
	v_fmamk_f32 v153, v67, 0x3f3d2fb0, v157
	v_add_f32_e32 v59, v77, v59
	v_mul_f32_e32 v77, 0xbe3c28d5, v81
	v_mul_f32_e32 v126, 0x3f65296c, v139
	v_add_f32_e32 v55, v80, v55
	v_add_f32_e32 v56, v152, v56
	v_fma_f32 v80, 0xbf59a7d5, v51, -v154
	v_fmac_f32_e32 v78, 0x3dbcf732, v61
	v_add_f32_e32 v60, v153, v60
	v_fmamk_f32 v147, v76, 0xbf7ba420, v77
	v_fma_f32 v150, 0x3ee437d1, v125, -v126
	v_mul_f32_e32 v152, 0x3f65296c, v137
	v_add_f32_e32 v80, v80, v55
	v_add_f32_e32 v56, v78, v56
	v_fma_f32 v78, 0x3dbcf732, v62, -v156
	v_fmac_f32_e32 v155, 0x3f3d2fb0, v68
	v_add_f32_e32 v60, v147, v60
	v_add_f32_e32 v55, v150, v59
	v_fmamk_f32 v59, v82, 0x3ee437d1, v152
	v_add_f32_e32 v78, v78, v80
	v_add_f32_e32 v80, v155, v56
	v_fma_f32 v147, 0x3f3d2fb0, v67, -v157
	v_fmac_f32_e32 v158, 0xbf7ba420, v75
	v_mul_f32_e32 v150, 0x3f65296c, v46
	v_mul_f32_e32 v153, 0x3f65296c, v45
	v_add_f32_e32 v56, v59, v60
	v_add_f32_e32 v59, v147, v78
	;; [unrolled: 1-line block ×3, first 2 shown]
	v_fma_f32 v78, 0x3ee437d1, v38, -v150
	v_fmamk_f32 v80, v37, 0x3ee437d1, v153
	v_mul_f32_e32 v147, 0xbf7ee86f, v53
	v_mul_f32_e32 v154, 0xbf7ee86f, v52
	v_fma_f32 v77, 0xbf7ba420, v76, -v77
	v_add_f32_e32 v49, v78, v49
	v_add_f32_e32 v50, v80, v50
	v_fma_f32 v78, 0x3dbcf732, v43, -v147
	v_fmamk_f32 v80, v44, 0x3dbcf732, v154
	v_mul_f32_e32 v155, 0x3f4c4adb, v58
	v_mul_f32_e32 v156, 0x3f4c4adb, v57
	v_add_f32_e32 v59, v77, v59
	v_add_f32_e32 v49, v78, v49
	v_add_f32_e32 v50, v80, v50
	v_fma_f32 v77, 0xbf1a4643, v54, -v155
	v_fmamk_f32 v78, v51, 0xbf1a4643, v156
	v_mul_f32_e32 v80, 0xbeb8f4ab, v66
	v_mul_f32_e32 v157, 0xbeb8f4ab, v65
	v_fma_f32 v152, 0x3ee437d1, v82, -v152
	v_add_f32_e32 v49, v77, v49
	v_add_f32_e32 v50, v78, v50
	v_fma_f32 v77, 0x3f6eb680, v61, -v80
	v_mul_f32_e32 v78, 0xbe3c28d5, v74
	v_fmamk_f32 v158, v62, 0x3f6eb680, v157
	v_fmac_f32_e32 v150, 0x3ee437d1, v38
	v_fmac_f32_e32 v126, 0x3ee437d1, v125
	v_add_f32_e32 v77, v77, v49
	v_fma_f32 v160, 0xbf7ba420, v68, -v78
	v_add_f32_e32 v158, v158, v50
	v_add_f32_e32 v50, v152, v59
	;; [unrolled: 1-line block ×3, first 2 shown]
	v_fmac_f32_e32 v147, 0x3dbcf732, v43
	v_add_f32_e32 v59, v160, v77
	v_fma_f32 v77, 0x3ee437d1, v37, -v153
	v_mul_f32_e32 v159, 0xbe3c28d5, v73
	v_add_f32_e32 v49, v126, v60
	v_mul_f32_e32 v126, 0x3f2c7751, v83
	v_add_f32_e32 v48, v147, v48
	v_add_f32_e32 v47, v77, v47
	v_fma_f32 v77, 0x3dbcf732, v44, -v154
	v_fmac_f32_e32 v155, 0xbf1a4643, v54
	v_fmamk_f32 v161, v67, 0xbf7ba420, v159
	v_mul_f32_e32 v152, 0x3f2c7751, v81
	v_fma_f32 v150, 0x3f3d2fb0, v75, -v126
	v_add_f32_e32 v47, v77, v47
	v_fma_f32 v77, 0xbf1a4643, v51, -v156
	v_add_f32_e32 v48, v155, v48
	v_fmac_f32_e32 v80, 0x3f6eb680, v61
	v_add_f32_e32 v60, v161, v158
	v_fmamk_f32 v153, v76, 0x3f3d2fb0, v152
	v_add_f32_e32 v47, v77, v47
	v_fma_f32 v77, 0x3f6eb680, v62, -v157
	v_add_f32_e32 v59, v150, v59
	v_mul_f32_e32 v147, 0xbf763a35, v139
	v_mul_f32_e32 v150, 0xbf763a35, v137
	v_add_f32_e32 v48, v80, v48
	v_fmac_f32_e32 v78, 0xbf7ba420, v68
	v_add_f32_e32 v47, v77, v47
	v_fma_f32 v77, 0xbf7ba420, v67, -v159
	v_add_f32_e32 v60, v153, v60
	v_fma_f32 v80, 0xbe8c1d8e, v125, -v147
	v_fmamk_f32 v153, v82, 0xbe8c1d8e, v150
	v_add_f32_e32 v78, v78, v48
	v_fmac_f32_e32 v126, 0x3f3d2fb0, v75
	v_add_f32_e32 v77, v77, v47
	v_fma_f32 v152, 0x3f3d2fb0, v76, -v152
	v_add_f32_e32 v47, v80, v59
	v_add_f32_e32 v48, v153, v60
	;; [unrolled: 1-line block ×3, first 2 shown]
	v_mul_f32_e32 v60, 0x3eb8f4ab, v46
	v_add_f32_e32 v46, v152, v77
	v_fmac_f32_e32 v147, 0xbe8c1d8e, v125
	v_mul_f32_e32 v77, 0x3eb8f4ab, v45
	v_mul_f32_e32 v53, 0xbf06c442, v53
	v_fma_f32 v80, 0x3f6eb680, v38, -v60
	v_mul_f32_e32 v52, 0xbf06c442, v52
	v_add_f32_e32 v45, v147, v59
	v_fmamk_f32 v59, v37, 0x3f6eb680, v77
	v_mul_f32_e32 v58, 0x3f2c7751, v58
	v_add_f32_e32 v42, v80, v42
	v_fma_f32 v80, 0xbf59a7d5, v43, -v53
	v_mul_f32_e32 v57, 0x3f2c7751, v57
	v_add_f32_e32 v41, v59, v41
	v_fmamk_f32 v59, v44, 0xbf59a7d5, v52
	v_mul_f32_e32 v66, 0xbf4c4adb, v66
	v_add_f32_e32 v42, v80, v42
	;; [unrolled: 6-line block ×3, first 2 shown]
	v_fma_f32 v80, 0xbf1a4643, v61, -v66
	v_mul_f32_e32 v73, 0x3f65296c, v73
	v_add_f32_e32 v41, v59, v41
	v_fmamk_f32 v59, v62, 0xbf1a4643, v65
	v_fma_f32 v78, 0xbe8c1d8e, v82, -v150
	v_add_f32_e32 v42, v80, v42
	v_fma_f32 v80, 0x3ee437d1, v68, -v74
	v_mul_f32_e32 v83, 0xbf763a35, v83
	v_add_f32_e32 v41, v59, v41
	v_fmamk_f32 v59, v67, 0x3ee437d1, v73
	v_add_f32_e32 v46, v78, v46
	v_add_f32_e32 v42, v80, v42
	v_fma_f32 v78, 0xbe8c1d8e, v75, -v83
	v_mul_f32_e32 v80, 0xbf763a35, v81
	v_add_f32_e32 v41, v59, v41
	v_mul_f32_e32 v59, 0x3f7ee86f, v139
	v_fmac_f32_e32 v60, 0x3f6eb680, v38
	v_add_f32_e32 v42, v78, v42
	v_fmamk_f32 v78, v76, 0xbe8c1d8e, v80
	v_mul_f32_e32 v81, 0x3f7ee86f, v137
	v_fma_f32 v126, 0x3dbcf732, v125, -v59
	v_fma_f32 v77, 0x3f6eb680, v37, -v77
	v_fmac_f32_e32 v79, 0xbf59a7d5, v38
	v_fma_f32 v37, 0xbf59a7d5, v37, -v128
	v_add_f32_e32 v60, v60, v40
	v_fmac_f32_e32 v53, 0xbf59a7d5, v43
	v_add_f32_e32 v41, v78, v41
	v_add_f32_e32 v40, v126, v42
	v_fmamk_f32 v42, v82, 0x3dbcf732, v81
	v_add_f32_e32 v39, v77, v39
	v_fma_f32 v52, 0xbf59a7d5, v44, -v52
	v_add_f32_e32 v35, v79, v35
	v_add_f32_e32 v36, v37, v36
	v_fmac_f32_e32 v138, 0x3f3d2fb0, v43
	v_fma_f32 v37, 0x3f3d2fb0, v44, -v140
	v_add_f32_e32 v53, v53, v60
	v_fmac_f32_e32 v58, 0x3f3d2fb0, v54
	v_add_f32_e32 v41, v42, v41
	v_add_f32_e32 v38, v52, v39
	v_fma_f32 v42, 0x3f3d2fb0, v51, -v57
	v_add_f32_e32 v35, v138, v35
	v_add_f32_e32 v36, v37, v36
	v_fmac_f32_e32 v141, 0x3ee437d1, v54
	v_fma_f32 v37, 0x3ee437d1, v51, -v142
	v_add_f32_e32 v39, v58, v53
	v_add_f32_e32 v38, v42, v38
	v_fmac_f32_e32 v66, 0xbf1a4643, v61
	v_fma_f32 v42, 0xbf1a4643, v62, -v65
	v_add_f32_e32 v35, v141, v35
	v_add_f32_e32 v36, v37, v36
	v_fmac_f32_e32 v143, 0xbf7ba420, v61
	v_fma_f32 v37, 0xbf7ba420, v62, -v127
	v_add_f32_e32 v39, v66, v39
	v_add_f32_e32 v38, v42, v38
	v_fmac_f32_e32 v74, 0x3ee437d1, v68
	v_fma_f32 v42, 0x3ee437d1, v67, -v73
	v_add_f32_e32 v35, v143, v35
	v_add_f32_e32 v36, v37, v36
	v_fmac_f32_e32 v144, 0x3dbcf732, v68
	v_fma_f32 v37, 0x3dbcf732, v67, -v145
	v_add_f32_e32 v39, v74, v39
	v_fmac_f32_e32 v83, 0xbe8c1d8e, v75
	v_add_f32_e32 v38, v42, v38
	v_fma_f32 v42, 0xbe8c1d8e, v76, -v80
	v_add_f32_e32 v35, v144, v35
	v_add_f32_e32 v36, v37, v36
	v_fmac_f32_e32 v146, 0x3f6eb680, v75
	v_fma_f32 v37, 0x3f6eb680, v76, -v148
	v_add_f32_e32 v39, v83, v39
	v_add_f32_e32 v38, v42, v38
	v_fmac_f32_e32 v59, 0x3dbcf732, v125
	;; [unrolled: 4-line block ×3, first 2 shown]
	v_fma_f32 v51, 0xbf1a4643, v82, -v151
	v_add_f32_e32 v35, v59, v39
	v_add_f32_e32 v36, v42, v38
                                        ; implicit-def: $vgpr125
	v_add_f32_e32 v37, v149, v43
	v_add_f32_e32 v38, v51, v44
	ds_write2_b64 v133, v[69:70], v[71:72] offset0:68 offset1:85
	ds_write2_b64 v133, v[55:56], v[47:48] offset0:102 offset1:119
	;; [unrolled: 1-line block ×6, first 2 shown]
	ds_write_b64 v133, v[121:122] offset:2176
	v_add_nc_u32_e32 v32, 0x400, v129
	s_waitcnt lgkmcnt(0)
	s_barrier
	buffer_gl0_inv
	ds_read2_b64 v[60:63], v129 offset1:51
	ds_read2_b64 v[56:59], v32 offset0:76 offset1:161
	ds_read2_b64 v[68:71], v136 offset0:66 offset1:117
	;; [unrolled: 1-line block ×5, first 2 shown]
	ds_read_b64 v[127:128], v129 offset:6256
	ds_read2_b64 v[80:83], v135 offset0:186 offset1:237
	s_and_saveexec_b32 s0, vcc_lo
	s_cbranch_execz .LBB0_3
; %bb.2:
	ds_read_b64 v[123:124], v129 offset:2040
	ds_read_b64 v[121:122], v129 offset:4352
	;; [unrolled: 1-line block ×3, first 2 shown]
.LBB0_3:
	s_or_b32 exec_lo, exec_lo, s0
	v_lshlrev_b32_e32 v44, 4, v130
	v_add_nc_u32_e32 v32, 0x330, v44
	v_add_co_u32 v33, s0, s2, v44
	v_add_co_ci_u32_e64 v34, null, s3, 0, s0
	v_add_co_u32 v35, s0, s2, v32
	v_add_co_ci_u32_e64 v36, null, s3, 0, s0
	v_add_co_u32 v32, s0, 0x800, v33
	v_add_co_ci_u32_e64 v33, s0, 0, v34, s0
	v_add_co_u32 v34, s0, 0x800, v35
	v_add_nc_u32_e32 v45, 0x660, v44
	v_add_co_ci_u32_e64 v35, s0, 0, v36, s0
	v_add_co_u32 v137, s0, 0xff, v130
	v_add_co_ci_u32_e64 v138, null, 0, 0, s0
	s_clause 0x1
	global_load_dwordx4 v[40:43], v[32:33], off offset:128
	global_load_dwordx4 v[36:39], v[34:35], off offset:128
	v_add_co_u32 v32, s0, s2, v45
	v_add_co_ci_u32_e64 v33, null, s3, 0, s0
	v_add_nc_u32_e32 v34, 0x990, v44
	v_add_co_u32 v32, s0, 0x800, v32
	v_add_co_ci_u32_e64 v33, s0, 0, v33, s0
	v_add_co_u32 v34, s0, s2, v34
	v_add_co_ci_u32_e64 v35, null, s3, 0, s0
	v_add_nc_u32_e32 v44, 0xcc0, v44
	v_add_co_u32 v34, s0, 0x800, v34
	v_add_co_ci_u32_e64 v35, s0, 0, v35, s0
	v_add_co_u32 v48, s0, s2, v44
	v_add_co_ci_u32_e64 v49, null, s3, 0, s0
	s_clause 0x1
	global_load_dwordx4 v[52:55], v[32:33], off offset:128
	global_load_dwordx4 v[44:47], v[34:35], off offset:128
	v_add_co_u32 v32, s0, 0x800, v48
	v_add_co_ci_u32_e64 v33, s0, 0, v49, s0
	v_add_co_u32 v34, s0, 0xffffffde, v130
	v_add_co_ci_u32_e64 v35, null, 0, -1, s0
	global_load_dwordx4 v[48:51], v[32:33], off offset:128
	v_cndmask_b32_e32 v32, v34, v137, vcc_lo
	v_cndmask_b32_e32 v33, v35, v138, vcc_lo
	v_lshlrev_b64 v[32:33], 4, v[32:33]
	v_add_co_u32 v32, s0, s2, v32
	v_add_co_ci_u32_e64 v33, s0, s3, v33, s0
	v_add_co_u32 v32, s0, 0x800, v32
	v_add_co_ci_u32_e64 v33, s0, 0, v33, s0
	global_load_dwordx4 v[32:35], v[32:33], off offset:128
	s_waitcnt vmcnt(5) lgkmcnt(6)
	v_mul_f32_e32 v137, v59, v41
	v_mul_f32_e32 v138, v58, v41
	s_waitcnt lgkmcnt(5)
	v_mul_f32_e32 v139, v69, v43
	v_mul_f32_e32 v140, v68, v43
	v_fma_f32 v58, v58, v40, -v137
	v_fmac_f32_e32 v138, v59, v40
	v_fma_f32 v68, v68, v42, -v139
	v_fmac_f32_e32 v140, v69, v42
	s_waitcnt vmcnt(4) lgkmcnt(4)
	v_mul_f32_e32 v59, v73, v37
	v_mul_f32_e32 v137, v72, v37
	;; [unrolled: 1-line block ×4, first 2 shown]
	v_fma_f32 v72, v72, v36, -v59
	v_fmac_f32_e32 v137, v73, v36
	v_fma_f32 v153, v70, v38, -v69
	v_fmac_f32_e32 v139, v71, v38
	v_add_f32_e32 v69, v60, v58
	v_add_f32_e32 v71, v58, v68
	s_waitcnt vmcnt(3)
	v_mul_f32_e32 v141, v75, v53
	v_mul_f32_e32 v142, v74, v53
	s_waitcnt vmcnt(2) lgkmcnt(0)
	v_mul_f32_e32 v146, v80, v45
	v_mul_f32_e32 v148, v78, v47
	;; [unrolled: 1-line block ×6, first 2 shown]
	v_fma_f32 v73, v74, v52, -v141
	v_fmac_f32_e32 v142, v75, v52
	s_waitcnt vmcnt(1)
	v_mul_f32_e32 v149, v83, v49
	v_mul_f32_e32 v150, v82, v49
	;; [unrolled: 1-line block ×4, first 2 shown]
	v_fmac_f32_e32 v146, v81, v44
	v_fmac_f32_e32 v148, v79, v46
	v_fma_f32 v75, v82, v48, -v149
	v_fmac_f32_e32 v150, v83, v48
	v_fma_f32 v82, v127, v50, -v151
	v_add_f32_e32 v79, v138, v140
	v_sub_f32_e32 v81, v58, v68
	v_fma_f32 v76, v76, v54, -v143
	v_fmac_f32_e32 v144, v77, v54
	v_fma_f32 v74, v80, v44, -v145
	v_fma_f32 v80, v78, v46, -v147
	v_add_f32_e32 v78, v61, v138
	v_sub_f32_e32 v77, v138, v140
	v_add_f32_e32 v70, v69, v68
	v_fma_f32 v68, -0.5, v71, v60
	v_fma_f32 v69, -0.5, v79, v61
	v_add_f32_e32 v138, v63, v137
	v_add_f32_e32 v141, v64, v73
	v_fmac_f32_e32 v152, v128, v50
	v_add_f32_e32 v71, v78, v140
	v_add_f32_e32 v78, v62, v72
	;; [unrolled: 1-line block ×3, first 2 shown]
	s_waitcnt vmcnt(0)
	v_mul_f32_e32 v83, v122, v33
	v_mul_f32_e32 v59, v121, v33
	;; [unrolled: 1-line block ×4, first 2 shown]
	v_sub_f32_e32 v128, v137, v139
	v_fma_f32 v61, v121, v32, -v83
	v_fmac_f32_e32 v59, v122, v32
	v_fma_f32 v60, v125, v34, -v127
	v_fmac_f32_e32 v58, v126, v34
	v_add_f32_e32 v137, v137, v139
	v_add_f32_e32 v143, v73, v76
	v_sub_f32_e32 v145, v142, v144
	v_add_f32_e32 v147, v65, v142
	v_add_f32_e32 v142, v142, v144
	v_sub_f32_e32 v140, v72, v153
	v_sub_f32_e32 v149, v73, v76
	v_add_f32_e32 v158, v56, v75
	v_add_f32_e32 v159, v75, v82
	v_sub_f32_e32 v162, v75, v82
	v_fmamk_f32 v72, v77, 0x3f5db3d7, v68
	v_fmamk_f32 v73, v81, 0xbf5db3d7, v69
	v_add_f32_e32 v75, v138, v139
	v_add_f32_e32 v76, v141, v76
	;; [unrolled: 1-line block ×6, first 2 shown]
	v_sub_f32_e32 v155, v146, v148
	v_add_f32_e32 v156, v67, v146
	v_add_f32_e32 v146, v146, v148
	v_sub_f32_e32 v157, v74, v80
	v_fmac_f32_e32 v68, 0xbf5db3d7, v77
	v_fmac_f32_e32 v69, 0x3f5db3d7, v81
	v_add_f32_e32 v74, v78, v153
	v_fma_f32 v62, -0.5, v79, v62
	v_fmac_f32_e32 v63, -0.5, v137
	v_fma_f32 v78, -0.5, v143, v64
	v_fma_f32 v79, -0.5, v142, v65
	v_sub_f32_e32 v160, v150, v152
	v_add_f32_e32 v161, v57, v150
	v_add_f32_e32 v150, v150, v152
	v_sub_f32_e32 v64, v59, v58
	v_sub_f32_e32 v65, v61, v60
	ds_write_b64 v129, v[72:73] offset:2312
	ds_write_b64 v129, v[68:69] offset:4624
	v_fma_f32 v68, -0.5, v139, v123
	v_fma_f32 v69, -0.5, v141, v124
	v_fma_f32 v66, -0.5, v154, v66
	v_fmac_f32_e32 v67, -0.5, v146
	v_fmamk_f32 v121, v128, 0x3f5db3d7, v62
	v_fmamk_f32 v122, v140, 0xbf5db3d7, v63
	;; [unrolled: 1-line block ×4, first 2 shown]
	v_fmac_f32_e32 v62, 0xbf5db3d7, v128
	v_fmac_f32_e32 v63, 0x3f5db3d7, v140
	;; [unrolled: 1-line block ×4, first 2 shown]
	v_fma_f32 v56, -0.5, v159, v56
	v_fmac_f32_e32 v57, -0.5, v150
	v_add_f32_e32 v77, v147, v144
	v_add_f32_e32 v80, v151, v80
	v_add_f32_e32 v81, v156, v148
	ds_write2_b64 v129, v[70:71], v[74:75] offset1:51
	ds_write2_b64 v135, v[121:122], v[125:126] offset0:84 offset1:135
	ds_write2_b64 v136, v[62:63], v[78:79] offset0:117 offset1:168
	v_fmamk_f32 v121, v64, 0xbf5db3d7, v68
	v_fmamk_f32 v122, v65, 0x3f5db3d7, v69
	;; [unrolled: 1-line block ×3, first 2 shown]
	v_fmac_f32_e32 v66, 0xbf5db3d7, v155
	v_fmamk_f32 v128, v157, 0xbf5db3d7, v67
	v_fmac_f32_e32 v67, 0x3f5db3d7, v157
	v_add_f32_e32 v82, v158, v82
	v_add_f32_e32 v83, v161, v152
	v_fmamk_f32 v137, v160, 0x3f5db3d7, v56
	v_fmamk_f32 v138, v162, 0xbf5db3d7, v57
	v_fmac_f32_e32 v56, 0xbf5db3d7, v160
	v_fmac_f32_e32 v57, 0x3f5db3d7, v162
	ds_write2_b64 v129, v[76:77], v[80:81] offset0:102 offset1:153
	ds_write_b64 v129, v[66:67] offset:5848
	ds_write_b64 v129, v[82:83] offset:1632
	ds_write2_b64 v135, v[127:128], v[137:138] offset0:186 offset1:237
	ds_write_b64 v129, v[56:57] offset:6256
	s_and_saveexec_b32 s0, vcc_lo
	s_cbranch_execz .LBB0_5
; %bb.4:
	v_add_f32_e32 v59, v124, v59
	v_add_f32_e32 v61, v123, v61
	v_mul_f32_e32 v56, 0x3f5db3d7, v65
	v_mul_f32_e32 v62, 0x3f5db3d7, v64
	v_add_f32_e32 v59, v59, v58
	v_add_f32_e32 v58, v61, v60
	v_sub_f32_e32 v57, v69, v56
	v_add_f32_e32 v56, v62, v68
	ds_write_b64 v129, v[58:59] offset:2040
	ds_write_b64 v129, v[56:57] offset:4352
	;; [unrolled: 1-line block ×3, first 2 shown]
.LBB0_5:
	s_or_b32 exec_lo, exec_lo, s0
	v_add_co_u32 v56, s0, 0x1b18, v131
	v_add_co_ci_u32_e64 v57, s0, 0, v132, s0
	s_waitcnt lgkmcnt(0)
	s_barrier
	buffer_gl0_inv
	s_clause 0x1
	global_load_dwordx2 v[60:61], v[119:120], off offset:792
	global_load_dwordx2 v[62:63], v[56:57], off offset:408
	v_add_co_u32 v58, s0, 0x2000, v131
	v_add_co_ci_u32_e64 v59, s0, 0, v132, s0
	s_clause 0x3
	global_load_dwordx2 v[119:120], v[56:57], off offset:816
	global_load_dwordx2 v[126:127], v[56:57], off offset:1224
	;; [unrolled: 1-line block ×4, first 2 shown]
	v_add_co_u32 v56, s0, 0x2800, v131
	v_add_co_ci_u32_e64 v57, s0, 0, v132, s0
	s_clause 0x5
	global_load_dwordx2 v[139:140], v[58:59], off offset:1192
	global_load_dwordx2 v[141:142], v[58:59], off offset:1600
	;; [unrolled: 1-line block ×6, first 2 shown]
	v_add_co_u32 v58, s0, 0x3000, v131
	v_add_co_ci_u32_e64 v59, s0, 0, v132, s0
	s_clause 0x4
	global_load_dwordx2 v[131:132], v[56:57], off offset:1592
	global_load_dwordx2 v[151:152], v[56:57], off offset:2000
	;; [unrolled: 1-line block ×5, first 2 shown]
	ds_read2_b64 v[56:59], v129 offset1:51
	v_add_nc_u32_e32 v123, 0x800, v129
	v_add_nc_u32_e32 v125, 0xc00, v129
	;; [unrolled: 1-line block ×3, first 2 shown]
	s_waitcnt vmcnt(16) lgkmcnt(0)
	v_mul_f32_e32 v65, v57, v61
	v_mul_f32_e32 v64, v56, v61
	s_waitcnt vmcnt(15)
	v_mul_f32_e32 v66, v59, v63
	v_mul_f32_e32 v61, v58, v63
	v_fma_f32 v63, v56, v60, -v65
	v_fmac_f32_e32 v64, v57, v60
	v_fma_f32 v60, v58, v62, -v66
	v_fmac_f32_e32 v61, v59, v62
	ds_write2_b64 v129, v[63:64], v[60:61] offset1:51
	ds_read2_b64 v[56:59], v129 offset0:102 offset1:153
	ds_read2_b64 v[60:63], v129 offset0:204 offset1:255
	;; [unrolled: 1-line block ×7, first 2 shown]
	ds_read_b64 v[159:160], v129 offset:6528
	s_waitcnt vmcnt(8) lgkmcnt(4)
	v_mul_f32_e32 v168, v69, v144
	s_waitcnt vmcnt(7)
	v_mul_f32_e32 v169, v71, v146
	v_mul_f32_e32 v161, v57, v120
	;; [unrolled: 1-line block ×15, first 2 shown]
	s_waitcnt vmcnt(6) lgkmcnt(3)
	v_mul_f32_e32 v170, v73, v148
	v_mul_f32_e32 v146, v72, v148
	s_waitcnt vmcnt(5)
	v_mul_f32_e32 v171, v75, v150
	v_mul_f32_e32 v148, v74, v150
	s_waitcnt vmcnt(4) lgkmcnt(2)
	v_mul_f32_e32 v172, v77, v132
	v_mul_f32_e32 v150, v76, v132
	s_waitcnt vmcnt(3)
	v_mul_f32_e32 v173, v79, v152
	v_mul_f32_e32 v132, v78, v152
	;; [unrolled: 6-line block ×3, first 2 shown]
	s_waitcnt vmcnt(0) lgkmcnt(0)
	v_mul_f32_e32 v176, v160, v158
	v_mul_f32_e32 v156, v159, v158
	v_fma_f32 v127, v56, v119, -v161
	v_fmac_f32_e32 v128, v57, v119
	v_fma_f32 v119, v58, v126, -v163
	v_fmac_f32_e32 v120, v59, v126
	;; [unrolled: 2-line block ×15, first 2 shown]
	ds_write2_b64 v129, v[127:128], v[119:120] offset0:102 offset1:153
	ds_write2_b64 v129, v[161:162], v[135:136] offset0:204 offset1:255
	;; [unrolled: 1-line block ×7, first 2 shown]
	ds_write_b64 v129, v[155:156] offset:6528
	s_waitcnt lgkmcnt(0)
	s_barrier
	buffer_gl0_inv
	ds_read2_b64 v[80:83], v129 offset1:51
	ds_read_b64 v[119:120], v129 offset:6528
	ds_read2_b64 v[135:138], v129 offset0:102 offset1:153
	ds_read2_b64 v[76:79], v124 offset0:202 offset1:253
	;; [unrolled: 1-line block ×7, first 2 shown]
	s_waitcnt lgkmcnt(0)
	s_barrier
	buffer_gl0_inv
	v_add_f32_e32 v131, v81, v83
	v_add_f32_e32 v128, v80, v82
	;; [unrolled: 1-line block ×4, first 2 shown]
	v_sub_f32_e32 v140, v82, v119
	v_add_f32_e32 v131, v131, v136
	v_add_f32_e32 v126, v75, v69
	v_sub_f32_e32 v127, v69, v75
	v_add_f32_e32 v128, v128, v135
	v_sub_f32_e32 v141, v83, v120
	v_add_f32_e32 v131, v131, v138
	v_add_f32_e32 v83, v74, v68
	v_sub_f32_e32 v82, v68, v74
	v_add_f32_e32 v128, v128, v137
	v_add_f32_e32 v143, v79, v136
	;; [unrolled: 1-line block ×3, first 2 shown]
	v_mul_f32_e32 v151, 0x3f3d2fb0, v139
	v_mul_f32_e32 v153, 0x3ee437d1, v139
	v_add_f32_e32 v68, v128, v68
	v_add_f32_e32 v142, v78, v135
	;; [unrolled: 1-line block ×3, first 2 shown]
	v_sub_f32_e32 v144, v135, v78
	v_sub_f32_e32 v145, v136, v79
	v_add_f32_e32 v68, v68, v70
	v_add_f32_e32 v147, v77, v138
	;; [unrolled: 1-line block ×3, first 2 shown]
	v_mul_f32_e32 v135, 0xbeb8f4ab, v141
	v_mul_f32_e32 v136, 0x3f6eb680, v139
	v_add_f32_e32 v68, v68, v60
	v_mul_f32_e32 v150, 0xbf2c7751, v141
	v_add_f32_e32 v69, v69, v63
	v_mul_f32_e32 v152, 0xbf65296c, v141
	v_mul_f32_e32 v154, 0xbf7ee86f, v141
	v_add_f32_e32 v68, v68, v62
	v_mul_f32_e32 v155, 0x3dbcf732, v139
	v_add_f32_e32 v69, v69, v57
	;; [unrolled: 5-line block ×4, first 2 shown]
	v_fmamk_f32 v200, v140, 0x3f2c7751, v151
	v_fmac_f32_e32 v151, 0xbf2c7751, v140
	v_add_f32_e32 v68, v68, v64
	v_fmamk_f32 v202, v140, 0x3f65296c, v153
	v_add_f32_e32 v69, v69, v67
	v_fmac_f32_e32 v153, 0xbf65296c, v140
	v_add_f32_e32 v146, v76, v137
	v_add_f32_e32 v68, v68, v66
	v_sub_f32_e32 v148, v137, v76
	v_add_f32_e32 v69, v69, v73
	v_sub_f32_e32 v149, v138, v77
	v_mul_f32_e32 v156, 0xbf763a35, v141
	v_mul_f32_e32 v158, 0xbf4c4adb, v141
	;; [unrolled: 1-line block ×3, first 2 shown]
	v_add_f32_e32 v69, v69, v75
	v_mul_f32_e32 v141, 0xbe3c28d5, v141
	v_mul_f32_e32 v162, 0xbf2c7751, v145
	;; [unrolled: 1-line block ×12, first 2 shown]
	v_fmamk_f32 v137, v132, 0x3f6eb680, v135
	v_fmamk_f32 v138, v140, 0x3eb8f4ab, v136
	v_fma_f32 v135, 0x3f6eb680, v132, -v135
	v_fmac_f32_e32 v136, 0xbeb8f4ab, v140
	v_fmamk_f32 v199, v132, 0x3f3d2fb0, v150
	v_fma_f32 v150, 0x3f3d2fb0, v132, -v150
	v_fmamk_f32 v201, v132, 0x3ee437d1, v152
	v_fma_f32 v152, 0x3ee437d1, v132, -v152
	v_fmamk_f32 v203, v132, 0x3dbcf732, v154
	v_fmamk_f32 v204, v140, 0x3f7ee86f, v155
	v_fmac_f32_e32 v155, 0xbf7ee86f, v140
	v_fmamk_f32 v206, v140, 0x3f763a35, v157
	v_fmac_f32_e32 v157, 0xbf763a35, v140
	;; [unrolled: 2-line block ×7, first 2 shown]
	v_add_f32_e32 v151, v81, v151
	v_add_f32_e32 v153, v81, v153
	;; [unrolled: 1-line block ×4, first 2 shown]
	v_mul_f32_e32 v170, 0x3f06c442, v145
	v_mul_f32_e32 v172, 0x3f763a35, v145
	v_mul_f32_e32 v174, 0x3f65296c, v145
	v_mul_f32_e32 v145, 0x3eb8f4ab, v145
	v_mul_f32_e32 v176, 0xbf65296c, v149
	v_mul_f32_e32 v177, 0x3ee437d1, v147
	v_mul_f32_e32 v178, 0xbf4c4adb, v149
	v_mul_f32_e32 v180, 0x3e3c28d5, v149
	v_mul_f32_e32 v182, 0x3f763a35, v149
	v_mul_f32_e32 v183, 0xbe8c1d8e, v147
	v_mul_f32_e32 v185, 0x3f3d2fb0, v147
	v_mul_f32_e32 v195, 0xbe8c1d8e, v126
	v_fma_f32 v154, 0x3dbcf732, v132, -v154
	v_fmamk_f32 v205, v132, 0xbe8c1d8e, v156
	v_fma_f32 v156, 0xbe8c1d8e, v132, -v156
	v_fmamk_f32 v207, v132, 0xbf1a4643, v158
	;; [unrolled: 2-line block ×5, first 2 shown]
	v_fmamk_f32 v141, v144, 0x3f2c7751, v163
	v_fma_f32 v162, 0x3f3d2fb0, v142, -v162
	v_fmac_f32_e32 v163, 0xbf2c7751, v144
	v_fmamk_f32 v213, v142, 0x3dbcf732, v164
	v_fma_f32 v164, 0x3dbcf732, v142, -v164
	v_fmamk_f32 v215, v142, 0xbf1a4643, v166
	v_fma_f32 v166, 0xbf1a4643, v142, -v166
	v_fmamk_f32 v217, v142, 0xbf7ba420, v168
	v_fmamk_f32 v218, v144, 0x3e3c28d5, v169
	;; [unrolled: 1-line block ×4, first 2 shown]
	v_fmac_f32_e32 v143, 0x3eb8f4ab, v144
	v_fmamk_f32 v230, v148, 0xbe3c28d5, v181
	v_fmac_f32_e32 v181, 0x3e3c28d5, v148
	v_add_f32_e32 v137, v80, v137
	v_add_f32_e32 v138, v81, v138
	;; [unrolled: 1-line block ×24, first 2 shown]
	v_mul_f32_e32 v179, 0xbf1a4643, v147
	v_mul_f32_e32 v184, 0x3f2c7751, v149
	;; [unrolled: 1-line block ×14, first 2 shown]
	v_fma_f32 v168, 0xbf7ba420, v142, -v168
	v_fmac_f32_e32 v169, 0xbe3c28d5, v144
	v_fmamk_f32 v219, v142, 0xbf59a7d5, v170
	v_fma_f32 v170, 0xbf59a7d5, v142, -v170
	v_fmac_f32_e32 v171, 0x3f06c442, v144
	v_fmamk_f32 v221, v142, 0xbe8c1d8e, v172
	v_fmamk_f32 v222, v144, 0xbf763a35, v173
	v_fma_f32 v172, 0xbe8c1d8e, v142, -v172
	v_fmac_f32_e32 v173, 0x3f763a35, v144
	v_fmamk_f32 v223, v142, 0x3ee437d1, v174
	;; [unrolled: 4-line block ×3, first 2 shown]
	v_fma_f32 v142, 0x3f6eb680, v142, -v145
	v_fmamk_f32 v144, v146, 0x3ee437d1, v176
	v_fmamk_f32 v145, v148, 0x3f65296c, v177
	;; [unrolled: 1-line block ×3, first 2 shown]
	v_fma_f32 v178, 0xbf1a4643, v146, -v178
	v_fmamk_f32 v229, v146, 0xbf7ba420, v180
	v_fma_f32 v180, 0xbf7ba420, v146, -v180
	v_fmamk_f32 v231, v146, 0xbe8c1d8e, v182
	v_fmamk_f32 v232, v148, 0xbf763a35, v183
	;; [unrolled: 1-line block ×4, first 2 shown]
	v_fmac_f32_e32 v195, 0x3f763a35, v82
	v_add_f32_e32 v201, v80, v201
	v_add_f32_e32 v154, v80, v154
	;; [unrolled: 1-line block ×24, first 2 shown]
	v_mul_f32_e32 v120, 0x3ee437d1, v126
	v_mul_f32_e32 v193, 0xbf7ba420, v126
	;; [unrolled: 1-line block ×3, first 2 shown]
	v_fma_f32 v176, 0x3ee437d1, v146, -v176
	v_fmac_f32_e32 v177, 0xbf65296c, v148
	v_fmamk_f32 v228, v148, 0x3f4c4adb, v179
	v_fmac_f32_e32 v179, 0xbf4c4adb, v148
	v_fma_f32 v182, 0xbe8c1d8e, v146, -v182
	v_fmac_f32_e32 v183, 0x3f763a35, v148
	v_fmamk_f32 v233, v146, 0x3f3d2fb0, v184
	v_fma_f32 v184, 0x3f3d2fb0, v146, -v184
	v_fmac_f32_e32 v185, 0x3f2c7751, v148
	v_fmamk_f32 v235, v146, 0x3f6eb680, v186
	v_fmamk_f32 v236, v148, 0x3eb8f4ab, v187
	v_fma_f32 v186, 0x3f6eb680, v146, -v186
	v_fmac_f32_e32 v187, 0xbeb8f4ab, v148
	v_fmamk_f32 v237, v146, 0x3dbcf732, v188
	v_fmamk_f32 v238, v148, 0x3f7ee86f, v189
	v_fma_f32 v188, 0x3dbcf732, v146, -v188
	v_fmac_f32_e32 v189, 0xbf7ee86f, v148
	v_fmamk_f32 v239, v146, 0xbf59a7d5, v149
	v_fmamk_f32 v240, v148, 0x3f06c442, v147
	v_fma_f32 v146, 0xbf59a7d5, v146, -v149
	v_fmac_f32_e32 v147, 0xbf06c442, v148
	v_fmamk_f32 v148, v83, 0x3dbcf732, v190
	v_fmamk_f32 v149, v82, 0x3f7ee86f, v191
	v_fmamk_f32 v241, v83, 0xbf7ba420, v192
	v_fma_f32 v192, 0xbf7ba420, v83, -v192
	v_fmamk_f32 v243, v83, 0xbe8c1d8e, v194
	v_fma_f32 v194, 0xbe8c1d8e, v83, -v194
	v_fmamk_f32 v245, v83, 0x3f6eb680, v196
	v_fmamk_f32 v246, v82, 0xbeb8f4ab, v197
	v_add_f32_e32 v137, v214, v200
	v_add_f32_e32 v141, v216, v202
	;; [unrolled: 1-line block ×16, first 2 shown]
	v_fmamk_f32 v143, v82, 0x3f65296c, v120
	v_fmamk_f32 v242, v82, 0x3e3c28d5, v193
	v_fmac_f32_e32 v193, 0xbe3c28d5, v82
	v_fma_f32 v196, 0x3f6eb680, v83, -v196
	v_fmamk_f32 v247, v83, 0x3ee437d1, v198
	v_add_f32_e32 v140, v215, v201
	v_add_f32_e32 v155, v169, v155
	;; [unrolled: 1-line block ×19, first 2 shown]
	v_mul_f32_e32 v142, 0xbf06c442, v127
	v_fma_f32 v144, 0x3ee437d1, v83, -v198
	v_mul_f32_e32 v145, 0xbf59a7d5, v126
	v_add_f32_e32 v143, v143, v153
	v_mul_f32_e32 v148, 0x3f4c4adb, v127
	v_mul_f32_e32 v149, 0xbf1a4643, v126
	;; [unrolled: 1-line block ×4, first 2 shown]
	v_sub_f32_e32 v153, v71, v73
	v_add_f32_e32 v71, v73, v71
	v_fma_f32 v190, 0x3dbcf732, v83, -v190
	v_fmac_f32_e32 v197, 0x3eb8f4ab, v82
	v_add_f32_e32 v132, v176, v132
	v_add_f32_e32 v140, v229, v140
	v_add_f32_e32 v151, v183, v155
	v_add_f32_e32 v155, v185, v157
	v_add_f32_e32 v157, v236, v165
	v_add_f32_e32 v165, v240, v169
	v_add_f32_e32 v80, v146, v80
	v_add_f32_e32 v81, v147, v81
	v_add_f32_e32 v75, v242, v137
	v_add_f32_e32 v76, v193, v139
	v_add_f32_e32 v137, v244, v141
	v_add_f32_e32 v139, v196, v150
	v_add_f32_e32 v141, v247, v152
	v_fmamk_f32 v146, v83, 0xbf59a7d5, v142
	v_add_f32_e32 v144, v144, v154
	v_fma_f32 v142, 0xbf59a7d5, v83, -v142
	v_fmamk_f32 v150, v83, 0xbf1a4643, v148
	v_fma_f32 v148, 0xbf1a4643, v83, -v148
	v_fmamk_f32 v152, v83, 0x3f3d2fb0, v127
	v_fmamk_f32 v154, v82, 0xbf2c7751, v126
	v_fma_f32 v83, 0x3f3d2fb0, v83, -v127
	v_add_f32_e32 v73, v72, v70
	v_mul_f32_e32 v127, 0xbf763a35, v153
	v_fmac_f32_e32 v126, 0x3f2c7751, v82
	v_sub_f32_e32 v70, v70, v72
	v_mul_f32_e32 v72, 0xbe8c1d8e, v71
	v_fmac_f32_e32 v191, 0xbf7ee86f, v82
	v_add_f32_e32 v135, v177, v135
	v_add_f32_e32 v132, v190, v132
	;; [unrolled: 1-line block ×4, first 2 shown]
	v_fmac_f32_e32 v120, 0xbf65296c, v82
	v_fmamk_f32 v147, v82, 0x3f06c442, v145
	v_fmac_f32_e32 v145, 0xbf06c442, v82
	v_fmamk_f32 v151, v82, 0xbf4c4adb, v149
	v_fmac_f32_e32 v149, 0x3f4c4adb, v82
	v_add_f32_e32 v82, v154, v165
	v_fmamk_f32 v154, v73, 0xbe8c1d8e, v127
	v_add_f32_e32 v80, v83, v80
	v_add_f32_e32 v81, v126, v81
	v_fmamk_f32 v83, v70, 0x3f763a35, v72
	v_mul_f32_e32 v126, 0x3f06c442, v153
	v_fma_f32 v127, 0xbe8c1d8e, v73, -v127
	v_add_f32_e32 v135, v191, v135
	v_add_f32_e32 v128, v154, v128
	v_fmac_f32_e32 v72, 0xbf763a35, v70
	v_add_f32_e32 v83, v83, v131
	v_fmamk_f32 v131, v73, 0xbf59a7d5, v126
	v_mul_f32_e32 v154, 0xbf59a7d5, v71
	v_add_f32_e32 v127, v127, v132
	v_mul_f32_e32 v132, 0x3f2c7751, v153
	v_add_f32_e32 v120, v120, v155
	v_add_f32_e32 v72, v72, v135
	;; [unrolled: 1-line block ×3, first 2 shown]
	v_fmamk_f32 v131, v70, 0xbf06c442, v154
	v_fma_f32 v126, 0xbf59a7d5, v73, -v126
	v_fmamk_f32 v135, v73, 0x3f3d2fb0, v132
	v_mul_f32_e32 v155, 0x3f3d2fb0, v71
	v_fmac_f32_e32 v154, 0x3f06c442, v70
	v_add_f32_e32 v75, v131, v75
	v_add_f32_e32 v126, v126, v136
	;; [unrolled: 1-line block ×3, first 2 shown]
	v_fmamk_f32 v131, v70, 0xbf2c7751, v155
	v_mul_f32_e32 v135, 0xbf65296c, v153
	v_fma_f32 v132, 0x3f3d2fb0, v73, -v132
	v_mul_f32_e32 v136, 0x3ee437d1, v71
	v_add_f32_e32 v76, v154, v76
	v_add_f32_e32 v131, v131, v137
	v_fmamk_f32 v137, v73, 0x3ee437d1, v135
	v_add_f32_e32 v78, v132, v78
	v_fmamk_f32 v132, v70, 0x3f65296c, v136
	v_mul_f32_e32 v154, 0xbe3c28d5, v153
	v_add_f32_e32 v164, v221, v207
	v_fmac_f32_e32 v155, 0x3f2c7751, v70
	v_add_f32_e32 v137, v137, v138
	v_fma_f32 v135, 0x3ee437d1, v73, -v135
	v_fmac_f32_e32 v136, 0xbf65296c, v70
	v_add_f32_e32 v119, v132, v119
	v_fmamk_f32 v132, v73, 0xbf7ba420, v154
	v_mul_f32_e32 v138, 0xbf7ba420, v71
	v_add_f32_e32 v158, v172, v158
	v_add_f32_e32 v166, v223, v209
	;; [unrolled: 1-line block ×7, first 2 shown]
	v_mul_f32_e32 v139, 0x3f7ee86f, v153
	v_add_f32_e32 v132, v132, v141
	v_fmamk_f32 v140, v70, 0x3e3c28d5, v138
	v_fma_f32 v141, 0xbf7ba420, v73, -v154
	v_mul_f32_e32 v155, 0x3dbcf732, v71
	v_add_f32_e32 v167, v224, v210
	v_add_f32_e32 v161, v175, v161
	;; [unrolled: 1-line block ×8, first 2 shown]
	v_fmac_f32_e32 v138, 0xbe3c28d5, v70
	v_fmamk_f32 v154, v73, 0x3dbcf732, v139
	v_add_f32_e32 v140, v140, v143
	v_add_f32_e32 v141, v141, v144
	v_fmamk_f32 v143, v70, 0xbf7ee86f, v155
	v_mul_f32_e32 v144, 0xbeb8f4ab, v153
	v_add_f32_e32 v163, v238, v167
	v_add_f32_e32 v161, v189, v161
	;; [unrolled: 1-line block ×8, first 2 shown]
	v_fma_f32 v139, 0x3dbcf732, v73, -v139
	v_mul_f32_e32 v146, 0x3f6eb680, v71
	v_add_f32_e32 v143, v143, v147
	v_fmamk_f32 v147, v73, 0x3f6eb680, v144
	v_mul_f32_e32 v153, 0xbf4c4adb, v153
	v_fma_f32 v144, 0x3f6eb680, v73, -v144
	v_add_f32_e32 v151, v151, v163
	v_add_f32_e32 v149, v149, v161
	;; [unrolled: 1-line block ×4, first 2 shown]
	v_fmamk_f32 v142, v70, 0x3eb8f4ab, v146
	v_add_f32_e32 v147, v147, v150
	v_fmac_f32_e32 v146, 0xbeb8f4ab, v70
	v_fmamk_f32 v150, v73, 0xbf1a4643, v153
	v_add_f32_e32 v144, v144, v148
	v_sub_f32_e32 v148, v61, v67
	v_add_f32_e32 v142, v142, v151
	v_mul_f32_e32 v71, 0xbf1a4643, v71
	v_add_f32_e32 v146, v146, v149
	v_add_f32_e32 v149, v150, v152
	;; [unrolled: 1-line block ×3, first 2 shown]
	v_mul_f32_e32 v152, 0xbf4c4adb, v148
	v_add_f32_e32 v61, v67, v61
	v_fmac_f32_e32 v155, 0x3f7ee86f, v70
	v_fmamk_f32 v150, v70, 0x3f4c4adb, v71
	v_fma_f32 v67, 0xbf1a4643, v73, -v153
	v_fmac_f32_e32 v71, 0xbf4c4adb, v70
	v_sub_f32_e32 v60, v60, v66
	v_fmamk_f32 v66, v151, 0xbf1a4643, v152
	v_mul_f32_e32 v70, 0xbf1a4643, v61
	v_add_f32_e32 v73, v150, v82
	v_add_f32_e32 v67, v67, v80
	;; [unrolled: 1-line block ×4, first 2 shown]
	v_fmamk_f32 v80, v60, 0x3f4c4adb, v70
	v_mul_f32_e32 v81, 0x3f763a35, v148
	v_fma_f32 v82, 0xbf1a4643, v151, -v152
	v_fmac_f32_e32 v70, 0xbf4c4adb, v60
	v_mul_f32_e32 v128, 0xbe8c1d8e, v61
	v_add_f32_e32 v80, v80, v83
	v_fmamk_f32 v83, v151, 0xbe8c1d8e, v81
	v_add_f32_e32 v82, v82, v127
	v_add_f32_e32 v70, v70, v72
	v_fmamk_f32 v72, v60, 0xbf763a35, v128
	v_mul_f32_e32 v127, 0xbeb8f4ab, v148
	v_fma_f32 v81, 0xbe8c1d8e, v151, -v81
	v_add_f32_e32 v74, v83, v74
	v_fmac_f32_e32 v128, 0x3f763a35, v60
	v_add_f32_e32 v72, v72, v75
	v_fmamk_f32 v75, v151, 0x3f6eb680, v127
	v_mul_f32_e32 v83, 0x3f6eb680, v61
	v_add_f32_e32 v81, v81, v126
	v_mul_f32_e32 v126, 0xbf06c442, v148
	v_add_f32_e32 v76, v128, v76
	v_add_f32_e32 v75, v75, v77
	v_fmamk_f32 v77, v60, 0x3eb8f4ab, v83
	v_fma_f32 v127, 0x3f6eb680, v151, -v127
	v_fmac_f32_e32 v83, 0xbeb8f4ab, v60
	v_fmamk_f32 v128, v151, 0xbf59a7d5, v126
	v_mul_f32_e32 v150, 0xbf59a7d5, v61
	v_add_f32_e32 v159, v173, v159
	v_add_f32_e32 v77, v77, v131
	;; [unrolled: 1-line block ×5, first 2 shown]
	v_fmamk_f32 v127, v60, 0x3f06c442, v150
	v_mul_f32_e32 v128, 0x3f7ee86f, v148
	v_fma_f32 v126, 0xbf59a7d5, v151, -v126
	v_fmac_f32_e32 v150, 0xbf06c442, v60
	v_mul_f32_e32 v131, 0x3dbcf732, v61
	v_add_f32_e32 v159, v187, v159
	v_add_f32_e32 v119, v127, v119
	v_fmamk_f32 v127, v151, 0x3dbcf732, v128
	v_add_f32_e32 v126, v126, v135
	v_add_f32_e32 v135, v150, v136
	v_fmamk_f32 v136, v60, 0xbf7ee86f, v131
	v_mul_f32_e32 v137, 0xbf2c7751, v148
	v_fmac_f32_e32 v131, 0x3f7ee86f, v60
	v_add_f32_e32 v145, v145, v159
	v_add_f32_e32 v127, v127, v132
	v_fma_f32 v128, 0x3dbcf732, v151, -v128
	v_add_f32_e32 v132, v136, v140
	v_fmamk_f32 v136, v151, 0x3f3d2fb0, v137
	v_mul_f32_e32 v140, 0x3f3d2fb0, v61
	v_add_f32_e32 v120, v131, v120
	v_mul_f32_e32 v131, 0xbe3c28d5, v148
	v_add_f32_e32 v145, v155, v145
	v_add_f32_e32 v128, v128, v141
	;; [unrolled: 1-line block ×3, first 2 shown]
	v_fmamk_f32 v138, v60, 0x3f2c7751, v140
	v_fma_f32 v137, 0x3f3d2fb0, v151, -v137
	v_fmac_f32_e32 v140, 0xbf2c7751, v60
	v_fmamk_f32 v141, v151, 0xbf7ba420, v131
	v_mul_f32_e32 v150, 0xbf7ba420, v61
	v_mul_f32_e32 v61, 0x3ee437d1, v61
	v_add_f32_e32 v137, v137, v139
	v_add_f32_e32 v139, v140, v145
	;; [unrolled: 1-line block ×3, first 2 shown]
	v_fmamk_f32 v141, v60, 0x3e3c28d5, v150
	v_fma_f32 v131, 0xbf7ba420, v151, -v131
	v_fmac_f32_e32 v150, 0xbe3c28d5, v60
	v_add_f32_e32 v138, v138, v143
	v_mul_f32_e32 v143, 0x3f65296c, v148
	v_fmamk_f32 v145, v60, 0xbf65296c, v61
	v_add_f32_e32 v131, v131, v144
	v_add_f32_e32 v144, v150, v146
	v_sub_f32_e32 v146, v63, v65
	v_add_f32_e32 v63, v65, v63
	v_add_f32_e32 v141, v141, v142
	v_fmamk_f32 v142, v151, 0x3ee437d1, v143
	v_add_f32_e32 v73, v145, v73
	v_add_f32_e32 v145, v64, v62
	v_mul_f32_e32 v65, 0xbf06c442, v146
	v_fma_f32 v143, 0x3ee437d1, v151, -v143
	v_fmac_f32_e32 v61, 0x3f65296c, v60
	v_sub_f32_e32 v60, v62, v64
	v_mul_f32_e32 v62, 0xbf59a7d5, v63
	v_fmamk_f32 v64, v145, 0xbf59a7d5, v65
	v_add_f32_e32 v67, v143, v67
	v_add_f32_e32 v61, v61, v71
	v_mul_f32_e32 v71, 0x3f65296c, v146
	v_fmamk_f32 v143, v60, 0x3f06c442, v62
	v_add_f32_e32 v64, v64, v66
	v_fma_f32 v65, 0xbf59a7d5, v145, -v65
	v_fmac_f32_e32 v62, 0xbf06c442, v60
	v_fmamk_f32 v66, v145, 0x3ee437d1, v71
	v_add_f32_e32 v80, v143, v80
	v_mul_f32_e32 v143, 0x3ee437d1, v63
	v_add_f32_e32 v65, v65, v82
	v_mul_f32_e32 v82, 0x3dbcf732, v63
	v_add_f32_e32 v66, v66, v74
	v_add_f32_e32 v62, v62, v70
	v_fmamk_f32 v74, v60, 0xbf65296c, v143
	v_fmac_f32_e32 v143, 0x3f65296c, v60
	v_mul_f32_e32 v70, 0xbf7ee86f, v146
	v_fma_f32 v71, 0x3ee437d1, v145, -v71
	v_add_f32_e32 v142, v142, v149
	v_add_f32_e32 v72, v74, v72
	v_add_f32_e32 v74, v143, v76
	v_fmamk_f32 v76, v60, 0x3f7ee86f, v82
	v_fmamk_f32 v147, v145, 0x3dbcf732, v70
	v_add_f32_e32 v71, v71, v81
	v_mul_f32_e32 v81, 0x3f4c4adb, v146
	v_fma_f32 v70, 0x3dbcf732, v145, -v70
	v_fmac_f32_e32 v82, 0xbf7ee86f, v60
	v_add_f32_e32 v76, v76, v77
	v_mul_f32_e32 v77, 0xbf1a4643, v63
	v_fmamk_f32 v143, v145, 0xbf1a4643, v81
	v_add_f32_e32 v70, v70, v78
	v_add_f32_e32 v78, v82, v79
	v_mul_f32_e32 v79, 0xbeb8f4ab, v146
	v_fmamk_f32 v82, v60, 0xbf4c4adb, v77
	v_add_f32_e32 v83, v143, v83
	v_fma_f32 v81, 0xbf1a4643, v145, -v81
	v_fmac_f32_e32 v77, 0x3f4c4adb, v60
	v_fmamk_f32 v143, v145, 0x3f6eb680, v79
	v_add_f32_e32 v82, v82, v119
	v_mul_f32_e32 v119, 0x3f6eb680, v63
	v_add_f32_e32 v81, v81, v126
	v_add_f32_e32 v77, v77, v135
	;; [unrolled: 1-line block ×3, first 2 shown]
	v_mul_f32_e32 v127, 0xbe3c28d5, v146
	v_fmamk_f32 v135, v60, 0x3eb8f4ab, v119
	v_fmac_f32_e32 v119, 0xbeb8f4ab, v60
	v_mul_f32_e32 v143, 0xbf7ba420, v63
	v_add_f32_e32 v75, v147, v75
	v_fma_f32 v79, 0x3f6eb680, v145, -v79
	v_fmamk_f32 v147, v145, 0xbf7ba420, v127
	v_add_f32_e32 v132, v135, v132
	v_add_f32_e32 v119, v119, v120
	v_fmamk_f32 v120, v60, 0x3e3c28d5, v143
	v_mul_f32_e32 v135, 0x3f2c7751, v146
	v_fma_f32 v127, 0xbf7ba420, v145, -v127
	v_fmac_f32_e32 v143, 0xbe3c28d5, v60
	v_add_f32_e32 v79, v79, v128
	v_add_f32_e32 v128, v147, v136
	;; [unrolled: 1-line block ×3, first 2 shown]
	v_mul_f32_e32 v136, 0x3f3d2fb0, v63
	v_fmamk_f32 v138, v145, 0x3f3d2fb0, v135
	v_add_f32_e32 v127, v127, v137
	v_add_f32_e32 v137, v143, v139
	v_mul_f32_e32 v139, 0xbf763a35, v146
	v_fmamk_f32 v143, v60, 0xbf2c7751, v136
	v_add_f32_e32 v138, v138, v140
	v_fma_f32 v135, 0x3f3d2fb0, v145, -v135
	v_fmac_f32_e32 v136, 0x3f2c7751, v60
	v_fmamk_f32 v140, v145, 0xbe8c1d8e, v139
	v_mul_f32_e32 v63, 0xbe8c1d8e, v63
	v_add_f32_e32 v141, v143, v141
	v_add_f32_e32 v131, v135, v131
	;; [unrolled: 1-line block ×4, first 2 shown]
	v_sub_f32_e32 v140, v57, v59
	v_fmamk_f32 v142, v60, 0x3f763a35, v63
	v_add_f32_e32 v143, v59, v57
	v_add_f32_e32 v144, v58, v56
	v_fmac_f32_e32 v63, 0xbf763a35, v60
	v_mul_f32_e32 v57, 0xbe3c28d5, v140
	v_fma_f32 v139, 0xbe8c1d8e, v145, -v139
	v_sub_f32_e32 v145, v56, v58
	v_mul_f32_e32 v59, 0xbf7ba420, v143
	v_add_f32_e32 v146, v63, v61
	v_fmamk_f32 v56, v144, 0xbf7ba420, v57
	v_mul_f32_e32 v61, 0x3eb8f4ab, v140
	v_fma_f32 v60, 0xbf7ba420, v144, -v57
	v_fmamk_f32 v58, v145, 0x3e3c28d5, v59
	v_fmac_f32_e32 v59, 0xbe3c28d5, v145
	v_add_f32_e32 v56, v56, v64
	v_fmamk_f32 v63, v144, 0x3f6eb680, v61
	v_mul_f32_e32 v64, 0x3f6eb680, v143
	v_add_f32_e32 v57, v58, v80
	v_add_f32_e32 v58, v60, v65
	v_add_f32_e32 v59, v59, v62
	v_mul_f32_e32 v65, 0xbf06c442, v140
	v_add_f32_e32 v60, v63, v66
	v_fmamk_f32 v62, v145, 0xbeb8f4ab, v64
	v_fma_f32 v63, 0x3f6eb680, v144, -v61
	v_add_f32_e32 v139, v139, v67
	v_fmac_f32_e32 v64, 0x3eb8f4ab, v145
	v_fmamk_f32 v66, v144, 0xbf59a7d5, v65
	v_mul_f32_e32 v67, 0xbf59a7d5, v143
	v_add_f32_e32 v61, v62, v72
	v_add_f32_e32 v62, v63, v71
	v_mul_f32_e32 v71, 0x3f2c7751, v140
	v_add_f32_e32 v142, v142, v73
	v_add_f32_e32 v63, v64, v74
	;; [unrolled: 1-line block ×3, first 2 shown]
	v_fmamk_f32 v66, v145, 0x3f06c442, v67
	v_fma_f32 v72, 0xbf59a7d5, v144, -v65
	v_fmac_f32_e32 v67, 0xbf06c442, v145
	v_mul_f32_e32 v73, 0x3f3d2fb0, v143
	v_fmamk_f32 v74, v144, 0x3f3d2fb0, v71
	v_mul_f32_e32 v75, 0xbf4c4adb, v140
	v_add_f32_e32 v65, v66, v76
	v_add_f32_e32 v66, v72, v70
	;; [unrolled: 1-line block ×3, first 2 shown]
	v_fmamk_f32 v72, v145, 0xbf2c7751, v73
	v_add_f32_e32 v70, v74, v83
	v_fma_f32 v74, 0x3f3d2fb0, v144, -v71
	v_fmac_f32_e32 v73, 0x3f2c7751, v145
	v_fmamk_f32 v76, v144, 0xbf1a4643, v75
	v_mul_f32_e32 v78, 0xbf1a4643, v143
	v_mul_f32_e32 v80, 0x3f65296c, v140
	v_add_f32_e32 v71, v72, v82
	v_add_f32_e32 v72, v74, v81
	;; [unrolled: 1-line block ×4, first 2 shown]
	v_fmamk_f32 v76, v145, 0x3f4c4adb, v78
	v_fma_f32 v77, 0xbf1a4643, v144, -v75
	v_mul_f32_e32 v82, 0x3ee437d1, v143
	v_fmac_f32_e32 v78, 0xbf4c4adb, v145
	v_fmamk_f32 v81, v144, 0x3ee437d1, v80
	v_mul_f32_e32 v83, 0xbf763a35, v140
	v_fma_f32 v80, 0x3ee437d1, v144, -v80
	v_add_f32_e32 v75, v76, v132
	v_add_f32_e32 v76, v77, v79
	v_fmamk_f32 v79, v145, 0xbf65296c, v82
	v_mul_f32_e32 v126, 0xbe8c1d8e, v143
	v_add_f32_e32 v77, v78, v119
	v_add_f32_e32 v78, v81, v128
	v_fmac_f32_e32 v82, 0x3f65296c, v145
	v_fmamk_f32 v119, v144, 0xbe8c1d8e, v83
	v_add_f32_e32 v80, v80, v127
	v_fma_f32 v127, 0xbe8c1d8e, v144, -v83
	v_mul_f32_e32 v128, 0x3f7ee86f, v140
	v_mul_f32_e32 v132, 0x3dbcf732, v143
	v_add_f32_e32 v79, v79, v120
	v_fmamk_f32 v120, v145, 0x3f763a35, v126
	v_add_f32_e32 v81, v82, v137
	v_add_f32_e32 v82, v119, v138
	;; [unrolled: 1-line block ×3, first 2 shown]
	v_fmac_f32_e32 v126, 0xbf763a35, v145
	v_fmamk_f32 v127, v144, 0x3dbcf732, v128
	v_fmamk_f32 v131, v145, 0xbf7ee86f, v132
	v_fma_f32 v128, 0x3dbcf732, v144, -v128
	v_fmac_f32_e32 v132, 0x3f7ee86f, v145
	v_add_f32_e32 v83, v120, v141
	v_add_f32_e32 v120, v126, v135
	;; [unrolled: 1-line block ×6, first 2 shown]
	ds_write2_b64 v134, v[68:69], v[56:57] offset1:1
	ds_write2_b64 v134, v[60:61], v[64:65] offset0:2 offset1:3
	ds_write2_b64 v134, v[70:71], v[74:75] offset0:4 offset1:5
	;; [unrolled: 1-line block ×7, first 2 shown]
	ds_write_b64 v134, v[58:59] offset:128
	s_waitcnt lgkmcnt(0)
	s_barrier
	buffer_gl0_inv
	ds_read2_b64 v[56:59], v129 offset1:51
	ds_read2_b64 v[60:63], v129 offset0:102 offset1:153
	ds_read2_b64 v[64:67], v129 offset0:204 offset1:255
	;; [unrolled: 1-line block ×7, first 2 shown]
	ds_read_b64 v[119:120], v129 offset:6528
	s_waitcnt lgkmcnt(0)
	s_barrier
	buffer_gl0_inv
	v_mul_f32_e32 v131, v29, v59
	v_mul_f32_e32 v29, v29, v58
	v_fmac_f32_e32 v131, v28, v58
	v_mul_f32_e32 v58, v31, v61
	v_mul_f32_e32 v31, v31, v60
	v_fma_f32 v29, v28, v59, -v29
	v_mul_f32_e32 v59, v21, v63
	v_mul_f32_e32 v21, v21, v62
	v_fmac_f32_e32 v58, v30, v60
	v_fma_f32 v30, v30, v61, -v31
	v_mul_f32_e32 v28, v23, v65
	v_mul_f32_e32 v23, v23, v64
	v_fma_f32 v31, v20, v63, -v21
	v_mul_f32_e32 v21, v17, v67
	v_mul_f32_e32 v17, v17, v66
	v_fmac_f32_e32 v59, v20, v62
	v_fmac_f32_e32 v28, v22, v64
	v_mul_f32_e32 v20, v19, v69
	v_fma_f32 v23, v22, v65, -v23
	v_mul_f32_e32 v19, v19, v68
	v_fma_f32 v22, v16, v67, -v17
	v_mul_f32_e32 v17, v1, v71
	v_mul_f32_e32 v1, v1, v70
	v_add_f32_e32 v61, v57, v29
	v_fmac_f32_e32 v20, v18, v68
	v_fma_f32 v19, v18, v69, -v19
	v_add_f32_e32 v60, v56, v131
	v_fma_f32 v18, v0, v71, -v1
	v_add_f32_e32 v1, v61, v30
	v_fmac_f32_e32 v17, v0, v70
	v_fmac_f32_e32 v21, v16, v66
	v_add_f32_e32 v0, v60, v58
	v_mul_f32_e32 v16, v3, v73
	v_add_f32_e32 v1, v1, v31
	v_mul_f32_e32 v60, v3, v72
	v_mul_f32_e32 v3, v13, v75
	v_add_f32_e32 v0, v0, v59
	v_fmac_f32_e32 v16, v2, v72
	v_add_f32_e32 v1, v1, v23
	v_fma_f32 v2, v2, v73, -v60
	v_mul_f32_e32 v60, v13, v74
	v_add_f32_e32 v0, v0, v28
	v_fmac_f32_e32 v3, v12, v74
	v_add_f32_e32 v1, v1, v22
	v_mul_f32_e32 v13, v15, v77
	v_mul_f32_e32 v15, v15, v76
	v_add_f32_e32 v0, v0, v21
	v_fma_f32 v12, v12, v75, -v60
	v_add_f32_e32 v1, v1, v19
	v_fmac_f32_e32 v13, v14, v76
	v_fma_f32 v14, v14, v77, -v15
	v_add_f32_e32 v0, v0, v20
	v_mul_f32_e32 v15, v9, v79
	v_add_f32_e32 v1, v1, v18
	v_mul_f32_e32 v60, v9, v78
	v_mul_f32_e32 v9, v11, v81
	v_add_f32_e32 v0, v0, v17
	v_fmac_f32_e32 v15, v8, v78
	v_add_f32_e32 v1, v1, v2
	v_fma_f32 v8, v8, v79, -v60
	v_mul_f32_e32 v11, v11, v80
	v_add_f32_e32 v0, v0, v16
	v_mul_f32_e32 v60, v5, v83
	v_add_f32_e32 v1, v1, v12
	v_mul_f32_e32 v61, v5, v82
	v_fma_f32 v5, v10, v81, -v11
	v_add_f32_e32 v0, v0, v3
	v_fmac_f32_e32 v9, v10, v80
	v_add_f32_e32 v1, v1, v14
	v_fmac_f32_e32 v60, v4, v82
	v_fma_f32 v4, v4, v83, -v61
	v_add_f32_e32 v0, v0, v13
	v_mul_f32_e32 v10, v7, v126
	v_add_f32_e32 v1, v1, v8
	v_mul_f32_e32 v7, v7, v125
	v_mul_f32_e32 v11, v25, v128
	v_add_f32_e32 v0, v0, v15
	v_fmac_f32_e32 v10, v6, v125
	v_add_f32_e32 v1, v1, v5
	v_fma_f32 v6, v6, v126, -v7
	v_mul_f32_e32 v7, v27, v119
	v_add_f32_e32 v0, v0, v9
	v_mul_f32_e32 v25, v25, v127
	v_add_f32_e32 v1, v1, v4
	v_fmac_f32_e32 v11, v24, v127
	v_mul_f32_e32 v27, v27, v120
	v_fma_f32 v7, v26, v120, -v7
	v_add_f32_e32 v0, v0, v60
	v_fma_f32 v24, v24, v128, -v25
	v_add_f32_e32 v1, v1, v6
	v_fmac_f32_e32 v27, v26, v119
	v_sub_f32_e32 v25, v29, v7
	v_add_f32_e32 v0, v0, v10
	v_add_f32_e32 v29, v29, v7
	;; [unrolled: 1-line block ×4, first 2 shown]
	v_mul_f32_e32 v61, 0xbeb8f4ab, v25
	v_add_f32_e32 v0, v0, v11
	v_sub_f32_e32 v62, v131, v27
	v_mul_f32_e32 v63, 0x3f6eb680, v29
	v_add_f32_e32 v1, v1, v7
	v_mul_f32_e32 v7, 0xbf2c7751, v25
	v_mul_f32_e32 v66, 0x3f3d2fb0, v29
	;; [unrolled: 1-line block ×14, first 2 shown]
	v_sub_f32_e32 v128, v30, v24
	v_add_f32_e32 v24, v30, v24
	v_fmamk_f32 v64, v26, 0x3f6eb680, v61
	v_add_f32_e32 v0, v0, v27
	v_fmamk_f32 v27, v62, 0x3eb8f4ab, v63
	v_fma_f32 v61, 0x3f6eb680, v26, -v61
	v_fmac_f32_e32 v63, 0xbeb8f4ab, v62
	v_fmamk_f32 v65, v26, 0x3f3d2fb0, v7
	v_fmamk_f32 v68, v62, 0x3f2c7751, v66
	v_fma_f32 v7, 0x3f3d2fb0, v26, -v7
	v_fmac_f32_e32 v66, 0xbf2c7751, v62
	v_fmamk_f32 v70, v26, 0x3ee437d1, v67
	;; [unrolled: 4-line block ×7, first 2 shown]
	v_fmamk_f32 v131, v62, 0x3e3c28d5, v29
	v_fma_f32 v25, 0xbf7ba420, v26, -v25
	v_add_f32_e32 v26, v58, v11
	v_mul_f32_e32 v30, 0xbf2c7751, v128
	v_fmac_f32_e32 v29, 0xbe3c28d5, v62
	v_sub_f32_e32 v11, v58, v11
	v_mul_f32_e32 v58, 0x3f3d2fb0, v24
	v_add_f32_e32 v64, v56, v64
	v_add_f32_e32 v27, v57, v27
	;; [unrolled: 1-line block ×30, first 2 shown]
	v_fmamk_f32 v131, v26, 0x3f3d2fb0, v30
	v_add_f32_e32 v25, v56, v25
	v_add_f32_e32 v29, v57, v29
	v_fmamk_f32 v56, v11, 0x3f2c7751, v58
	v_mul_f32_e32 v57, 0xbf7ee86f, v128
	v_fma_f32 v30, 0x3f3d2fb0, v26, -v30
	v_add_f32_e32 v64, v131, v64
	v_fmac_f32_e32 v58, 0xbf2c7751, v11
	v_add_f32_e32 v27, v56, v27
	v_fmamk_f32 v56, v26, 0x3dbcf732, v57
	v_mul_f32_e32 v131, 0x3dbcf732, v24
	v_add_f32_e32 v30, v30, v61
	v_mul_f32_e32 v61, 0xbf4c4adb, v128
	v_add_f32_e32 v58, v58, v63
	v_add_f32_e32 v56, v56, v65
	v_fmamk_f32 v63, v11, 0x3f7ee86f, v131
	v_fma_f32 v57, 0x3dbcf732, v26, -v57
	v_fmac_f32_e32 v131, 0xbf7ee86f, v11
	v_fmamk_f32 v65, v26, 0xbf1a4643, v61
	v_mul_f32_e32 v132, 0xbf1a4643, v24
	v_add_f32_e32 v63, v63, v68
	v_add_f32_e32 v7, v57, v7
	v_add_f32_e32 v57, v131, v66
	v_add_f32_e32 v65, v65, v70
	v_fmamk_f32 v66, v11, 0x3f4c4adb, v132
	v_mul_f32_e32 v68, 0xbe3c28d5, v128
	v_fma_f32 v61, 0xbf1a4643, v26, -v61
	v_fmac_f32_e32 v132, 0xbf4c4adb, v11
	v_mul_f32_e32 v70, 0xbf7ba420, v24
	v_add_f32_e32 v66, v66, v71
	v_fmamk_f32 v71, v26, 0xbf7ba420, v68
	v_add_f32_e32 v61, v61, v67
	v_add_f32_e32 v67, v132, v69
	v_fmamk_f32 v69, v11, 0x3e3c28d5, v70
	v_mul_f32_e32 v131, 0x3f06c442, v128
	v_add_f32_e32 v71, v71, v74
	v_fma_f32 v68, 0xbf7ba420, v26, -v68
	v_fmac_f32_e32 v70, 0xbe3c28d5, v11
	v_add_f32_e32 v69, v69, v76
	v_fmamk_f32 v74, v26, 0xbf59a7d5, v131
	v_mul_f32_e32 v76, 0xbf59a7d5, v24
	v_add_f32_e32 v68, v68, v72
	v_add_f32_e32 v70, v70, v73
	v_mul_f32_e32 v72, 0x3f763a35, v128
	v_add_f32_e32 v73, v74, v77
	v_fmamk_f32 v74, v11, 0xbf06c442, v76
	v_fmac_f32_e32 v76, 0x3f06c442, v11
	v_mul_f32_e32 v132, 0xbe8c1d8e, v24
	v_fma_f32 v77, 0xbf59a7d5, v26, -v131
	v_fmamk_f32 v131, v26, 0xbe8c1d8e, v72
	v_add_f32_e32 v74, v74, v80
	v_add_f32_e32 v76, v76, v78
	v_fmamk_f32 v78, v11, 0xbf763a35, v132
	v_mul_f32_e32 v80, 0x3f65296c, v128
	v_add_f32_e32 v75, v77, v75
	v_add_f32_e32 v77, v131, v82
	v_fma_f32 v72, 0xbe8c1d8e, v26, -v72
	v_mul_f32_e32 v82, 0x3ee437d1, v24
	v_add_f32_e32 v78, v78, v83
	v_fmamk_f32 v83, v26, 0x3ee437d1, v80
	v_mul_f32_e32 v128, 0x3eb8f4ab, v128
	v_fma_f32 v80, 0x3ee437d1, v26, -v80
	v_add_f32_e32 v72, v72, v79
	v_fmamk_f32 v79, v11, 0xbf65296c, v82
	v_add_f32_e32 v83, v83, v125
	v_fmac_f32_e32 v82, 0x3f65296c, v11
	v_fmamk_f32 v125, v26, 0x3f6eb680, v128
	v_add_f32_e32 v80, v80, v119
	v_sub_f32_e32 v119, v31, v6
	v_add_f32_e32 v79, v79, v126
	v_mul_f32_e32 v24, 0x3f6eb680, v24
	v_add_f32_e32 v82, v82, v120
	v_add_f32_e32 v120, v125, v127
	;; [unrolled: 1-line block ×3, first 2 shown]
	v_mul_f32_e32 v127, 0xbf65296c, v119
	v_add_f32_e32 v6, v31, v6
	v_fmac_f32_e32 v132, 0x3f763a35, v11
	v_fmamk_f32 v125, v11, 0xbeb8f4ab, v24
	v_fma_f32 v26, 0x3f6eb680, v26, -v128
	v_fmac_f32_e32 v24, 0x3eb8f4ab, v11
	v_sub_f32_e32 v10, v59, v10
	v_fmamk_f32 v11, v126, 0x3ee437d1, v127
	v_mul_f32_e32 v31, 0x3ee437d1, v6
	v_add_f32_e32 v59, v125, v62
	v_add_f32_e32 v25, v26, v25
	;; [unrolled: 1-line block ×4, first 2 shown]
	v_fmamk_f32 v26, v10, 0x3f65296c, v31
	v_mul_f32_e32 v29, 0xbf4c4adb, v119
	v_fma_f32 v62, 0x3ee437d1, v126, -v127
	v_fmac_f32_e32 v31, 0xbf65296c, v10
	v_mul_f32_e32 v64, 0xbf1a4643, v6
	v_add_f32_e32 v26, v26, v27
	v_fmamk_f32 v27, v126, 0xbf1a4643, v29
	v_add_f32_e32 v30, v62, v30
	v_add_f32_e32 v31, v31, v58
	v_fmamk_f32 v58, v10, 0x3f4c4adb, v64
	v_mul_f32_e32 v62, 0x3e3c28d5, v119
	v_fma_f32 v29, 0xbf1a4643, v126, -v29
	v_fmac_f32_e32 v64, 0xbf4c4adb, v10
	v_add_f32_e32 v27, v27, v56
	v_add_f32_e32 v56, v58, v63
	v_fmamk_f32 v58, v126, 0xbf7ba420, v62
	v_mul_f32_e32 v63, 0xbf7ba420, v6
	v_add_f32_e32 v7, v29, v7
	v_add_f32_e32 v29, v64, v57
	v_mul_f32_e32 v57, 0x3f763a35, v119
	v_add_f32_e32 v58, v58, v65
	v_fmamk_f32 v64, v10, 0xbe3c28d5, v63
	v_fma_f32 v62, 0xbf7ba420, v126, -v62
	v_fmac_f32_e32 v63, 0x3e3c28d5, v10
	v_fmamk_f32 v65, v126, 0xbe8c1d8e, v57
	v_mul_f32_e32 v125, 0xbe8c1d8e, v6
	v_add_f32_e32 v64, v64, v66
	v_add_f32_e32 v61, v62, v61
	;; [unrolled: 1-line block ×4, first 2 shown]
	v_fmamk_f32 v65, v10, 0xbf763a35, v125
	v_mul_f32_e32 v66, 0x3f2c7751, v119
	v_fma_f32 v57, 0xbe8c1d8e, v126, -v57
	v_fmac_f32_e32 v125, 0x3f763a35, v10
	v_mul_f32_e32 v67, 0x3f3d2fb0, v6
	v_add_f32_e32 v65, v65, v69
	v_fmamk_f32 v69, v126, 0x3f3d2fb0, v66
	v_add_f32_e32 v57, v57, v68
	v_add_f32_e32 v68, v125, v70
	v_fmamk_f32 v70, v10, 0xbf2c7751, v67
	v_mul_f32_e32 v71, 0xbeb8f4ab, v119
	v_fma_f32 v66, 0x3f3d2fb0, v126, -v66
	v_add_f32_e32 v69, v69, v73
	v_fmac_f32_e32 v67, 0x3f2c7751, v10
	v_add_f32_e32 v70, v70, v74
	v_fmamk_f32 v73, v126, 0x3f6eb680, v71
	v_mul_f32_e32 v74, 0x3f6eb680, v6
	v_add_f32_e32 v66, v66, v75
	v_mul_f32_e32 v75, 0xbf7ee86f, v119
	v_add_f32_e32 v81, v132, v81
	v_add_f32_e32 v67, v67, v76
	;; [unrolled: 1-line block ×3, first 2 shown]
	v_fmamk_f32 v76, v10, 0x3eb8f4ab, v74
	v_fma_f32 v71, 0x3f6eb680, v126, -v71
	v_fmac_f32_e32 v74, 0xbeb8f4ab, v10
	v_fmamk_f32 v77, v126, 0x3dbcf732, v75
	v_mul_f32_e32 v125, 0x3dbcf732, v6
	v_mul_f32_e32 v6, 0xbf59a7d5, v6
	v_add_f32_e32 v71, v71, v72
	v_add_f32_e32 v72, v74, v81
	;; [unrolled: 1-line block ×3, first 2 shown]
	v_fmamk_f32 v77, v10, 0x3f7ee86f, v125
	v_fma_f32 v75, 0x3dbcf732, v126, -v75
	v_fmac_f32_e32 v125, 0xbf7ee86f, v10
	v_add_f32_e32 v76, v76, v78
	v_mul_f32_e32 v78, 0xbf06c442, v119
	v_fmamk_f32 v81, v10, 0x3f06c442, v6
	v_add_f32_e32 v75, v75, v80
	v_add_f32_e32 v80, v125, v82
	v_sub_f32_e32 v82, v23, v4
	v_add_f32_e32 v4, v23, v4
	v_add_f32_e32 v77, v77, v79
	v_fmamk_f32 v79, v126, 0xbf59a7d5, v78
	v_add_f32_e32 v59, v81, v59
	v_add_f32_e32 v81, v28, v60
	v_mul_f32_e32 v23, 0xbf7ee86f, v82
	v_fma_f32 v78, 0xbf59a7d5, v126, -v78
	v_fmac_f32_e32 v6, 0xbf06c442, v10
	v_sub_f32_e32 v10, v28, v60
	v_mul_f32_e32 v28, 0x3dbcf732, v4
	v_fmamk_f32 v60, v81, 0x3dbcf732, v23
	v_add_f32_e32 v25, v78, v25
	v_add_f32_e32 v6, v6, v24
	v_mul_f32_e32 v24, 0xbe3c28d5, v82
	v_fmamk_f32 v78, v10, 0x3f7ee86f, v28
	v_add_f32_e32 v11, v60, v11
	v_fma_f32 v23, 0x3dbcf732, v81, -v23
	v_fmac_f32_e32 v28, 0xbf7ee86f, v10
	v_fmamk_f32 v60, v81, 0xbf7ba420, v24
	v_add_f32_e32 v26, v78, v26
	v_mul_f32_e32 v78, 0xbf7ba420, v4
	v_add_f32_e32 v23, v23, v30
	v_add_f32_e32 v28, v28, v31
	;; [unrolled: 1-line block ×3, first 2 shown]
	v_mul_f32_e32 v30, 0x3f763a35, v82
	v_fmamk_f32 v31, v10, 0x3e3c28d5, v78
	v_fma_f32 v24, 0xbf7ba420, v81, -v24
	v_fmac_f32_e32 v78, 0xbe3c28d5, v10
	v_mul_f32_e32 v60, 0xbe8c1d8e, v4
	v_fmamk_f32 v83, v81, 0xbe8c1d8e, v30
	v_add_f32_e32 v31, v31, v56
	v_add_f32_e32 v7, v24, v7
	;; [unrolled: 1-line block ×3, first 2 shown]
	v_fmamk_f32 v29, v10, 0xbf763a35, v60
	v_add_f32_e32 v56, v83, v58
	v_mul_f32_e32 v58, 0x3eb8f4ab, v82
	v_fma_f32 v30, 0xbe8c1d8e, v81, -v30
	v_fmac_f32_e32 v60, 0x3f763a35, v10
	v_add_f32_e32 v29, v29, v64
	v_mul_f32_e32 v64, 0x3f6eb680, v4
	v_fmamk_f32 v78, v81, 0x3f6eb680, v58
	v_add_f32_e32 v30, v30, v61
	v_add_f32_e32 v60, v60, v62
	v_mul_f32_e32 v61, 0xbf65296c, v82
	v_fmamk_f32 v62, v10, 0xbeb8f4ab, v64
	v_add_f32_e32 v63, v78, v63
	v_fma_f32 v58, 0x3f6eb680, v81, -v58
	v_fmac_f32_e32 v64, 0x3eb8f4ab, v10
	v_fmamk_f32 v78, v81, 0x3ee437d1, v61
	v_add_f32_e32 v62, v62, v65
	v_mul_f32_e32 v65, 0x3ee437d1, v4
	v_add_f32_e32 v57, v58, v57
	v_add_f32_e32 v58, v64, v68
	;; [unrolled: 1-line block ×3, first 2 shown]
	v_mul_f32_e32 v68, 0xbf06c442, v82
	v_fmamk_f32 v69, v10, 0x3f65296c, v65
	v_fma_f32 v61, 0x3ee437d1, v81, -v61
	v_mul_f32_e32 v78, 0xbf59a7d5, v4
	v_fmac_f32_e32 v65, 0xbf65296c, v10
	v_fmamk_f32 v83, v81, 0xbf59a7d5, v68
	v_add_f32_e32 v69, v69, v70
	v_add_f32_e32 v61, v61, v66
	v_fmamk_f32 v66, v10, 0x3f06c442, v78
	v_mul_f32_e32 v70, 0x3f4c4adb, v82
	v_fma_f32 v68, 0xbf59a7d5, v81, -v68
	v_fmac_f32_e32 v78, 0xbf06c442, v10
	v_add_f32_e32 v79, v79, v120
	v_add_f32_e32 v66, v66, v76
	v_fmamk_f32 v76, v81, 0xbf1a4643, v70
	v_add_f32_e32 v68, v68, v71
	v_add_f32_e32 v71, v78, v72
	v_mul_f32_e32 v72, 0x3f2c7751, v82
	v_add_f32_e32 v65, v65, v67
	v_add_f32_e32 v67, v83, v73
	v_mul_f32_e32 v73, 0xbf1a4643, v4
	v_add_f32_e32 v74, v76, v74
	v_fma_f32 v70, 0xbf1a4643, v81, -v70
	v_fmamk_f32 v76, v81, 0x3f3d2fb0, v72
	v_mul_f32_e32 v4, 0x3f3d2fb0, v4
	v_fmamk_f32 v78, v10, 0xbf4c4adb, v73
	v_fmac_f32_e32 v73, 0x3f4c4adb, v10
	v_add_f32_e32 v70, v70, v75
	v_add_f32_e32 v75, v76, v79
	v_sub_f32_e32 v76, v22, v5
	v_add_f32_e32 v5, v22, v5
	v_add_f32_e32 v77, v78, v77
	v_fmamk_f32 v78, v10, 0xbf2c7751, v4
	v_fma_f32 v72, 0x3f3d2fb0, v81, -v72
	v_add_f32_e32 v22, v21, v9
	v_mul_f32_e32 v79, 0xbf763a35, v76
	v_fmac_f32_e32 v4, 0x3f2c7751, v10
	v_sub_f32_e32 v9, v21, v9
	v_mul_f32_e32 v10, 0xbe8c1d8e, v5
	v_add_f32_e32 v21, v78, v59
	v_fmamk_f32 v59, v22, 0xbe8c1d8e, v79
	v_add_f32_e32 v25, v72, v25
	v_add_f32_e32 v4, v4, v6
	v_fmamk_f32 v6, v9, 0x3f763a35, v10
	v_mul_f32_e32 v72, 0x3f06c442, v76
	v_fmac_f32_e32 v10, 0xbf763a35, v9
	v_add_f32_e32 v11, v59, v11
	v_fma_f32 v59, 0xbe8c1d8e, v22, -v79
	v_add_f32_e32 v6, v6, v26
	v_fmamk_f32 v26, v22, 0xbf59a7d5, v72
	v_mul_f32_e32 v78, 0xbf59a7d5, v5
	v_add_f32_e32 v10, v10, v28
	v_mul_f32_e32 v28, 0x3f2c7751, v76
	v_add_f32_e32 v23, v59, v23
	v_add_f32_e32 v26, v26, v27
	v_fmamk_f32 v27, v9, 0xbf06c442, v78
	v_fma_f32 v59, 0xbf59a7d5, v22, -v72
	v_fmamk_f32 v72, v22, 0x3f3d2fb0, v28
	v_mul_f32_e32 v79, 0x3f3d2fb0, v5
	v_fmac_f32_e32 v78, 0x3f06c442, v9
	v_add_f32_e32 v27, v27, v31
	v_add_f32_e32 v7, v59, v7
	;; [unrolled: 1-line block ×3, first 2 shown]
	v_fmamk_f32 v56, v9, 0xbf2c7751, v79
	v_mul_f32_e32 v59, 0xbf65296c, v76
	v_fma_f32 v28, 0x3f3d2fb0, v22, -v28
	v_fmac_f32_e32 v79, 0x3f2c7751, v9
	v_mul_f32_e32 v72, 0x3ee437d1, v5
	v_add_f32_e32 v24, v78, v24
	v_add_f32_e32 v29, v56, v29
	v_fmamk_f32 v56, v22, 0x3ee437d1, v59
	v_add_f32_e32 v28, v28, v30
	v_add_f32_e32 v30, v79, v60
	v_fmamk_f32 v60, v9, 0x3f65296c, v72
	v_mul_f32_e32 v78, 0xbe3c28d5, v76
	v_fma_f32 v59, 0x3ee437d1, v22, -v59
	v_add_f32_e32 v56, v56, v63
	v_fmac_f32_e32 v72, 0xbf65296c, v9
	v_add_f32_e32 v60, v60, v62
	v_fmamk_f32 v62, v22, 0xbf7ba420, v78
	v_mul_f32_e32 v63, 0xbf7ba420, v5
	v_add_f32_e32 v57, v59, v57
	v_mul_f32_e32 v59, 0x3f7ee86f, v76
	v_add_f32_e32 v58, v72, v58
	v_add_f32_e32 v62, v62, v64
	v_fmamk_f32 v64, v9, 0x3e3c28d5, v63
	v_fma_f32 v72, 0xbf7ba420, v22, -v78
	v_fmac_f32_e32 v63, 0xbe3c28d5, v9
	v_fmamk_f32 v78, v22, 0x3dbcf732, v59
	v_mul_f32_e32 v79, 0x3dbcf732, v5
	v_add_f32_e32 v64, v64, v69
	v_mul_f32_e32 v69, 0xbeb8f4ab, v76
	v_add_f32_e32 v63, v63, v65
	v_add_f32_e32 v65, v78, v67
	v_fmamk_f32 v67, v9, 0xbf7ee86f, v79
	v_add_f32_e32 v61, v72, v61
	v_fma_f32 v59, 0x3dbcf732, v22, -v59
	v_mul_f32_e32 v72, 0x3f6eb680, v5
	v_mul_f32_e32 v76, 0xbf4c4adb, v76
	v_add_f32_e32 v66, v67, v66
	v_fmamk_f32 v67, v22, 0x3f6eb680, v69
	v_fma_f32 v69, 0x3f6eb680, v22, -v69
	v_add_f32_e32 v73, v73, v80
	v_add_f32_e32 v59, v59, v68
	v_fmamk_f32 v68, v9, 0x3eb8f4ab, v72
	v_add_f32_e32 v67, v67, v74
	v_fmac_f32_e32 v72, 0xbeb8f4ab, v9
	v_fmamk_f32 v74, v22, 0xbf1a4643, v76
	v_add_f32_e32 v69, v69, v70
	v_sub_f32_e32 v70, v19, v8
	v_add_f32_e32 v68, v68, v77
	v_mul_f32_e32 v5, 0xbf1a4643, v5
	v_add_f32_e32 v72, v72, v73
	v_add_f32_e32 v73, v74, v75
	;; [unrolled: 1-line block ×3, first 2 shown]
	v_mul_f32_e32 v77, 0xbf4c4adb, v70
	v_add_f32_e32 v8, v19, v8
	v_fmac_f32_e32 v79, 0x3f7ee86f, v9
	v_fmamk_f32 v74, v9, 0x3f4c4adb, v5
	v_fma_f32 v19, 0xbf1a4643, v22, -v76
	v_fmac_f32_e32 v5, 0xbf4c4adb, v9
	v_sub_f32_e32 v9, v20, v15
	v_fmamk_f32 v15, v75, 0xbf1a4643, v77
	v_mul_f32_e32 v20, 0xbf1a4643, v8
	v_add_f32_e32 v19, v19, v25
	v_add_f32_e32 v4, v5, v4
	v_fma_f32 v22, 0xbf1a4643, v75, -v77
	v_add_f32_e32 v5, v15, v11
	v_fmamk_f32 v11, v9, 0x3f4c4adb, v20
	v_mul_f32_e32 v15, 0x3f763a35, v70
	v_fmac_f32_e32 v20, 0xbf4c4adb, v9
	v_mul_f32_e32 v25, 0xbe8c1d8e, v8
	v_add_f32_e32 v22, v22, v23
	v_add_f32_e32 v6, v11, v6
	v_fmamk_f32 v11, v75, 0xbe8c1d8e, v15
	v_add_f32_e32 v10, v20, v10
	v_fmamk_f32 v20, v9, 0xbf763a35, v25
	v_mul_f32_e32 v23, 0xbeb8f4ab, v70
	v_fma_f32 v15, 0xbe8c1d8e, v75, -v15
	v_fmac_f32_e32 v25, 0x3f763a35, v9
	v_add_f32_e32 v11, v11, v26
	v_add_f32_e32 v20, v20, v27
	v_fmamk_f32 v26, v75, 0x3f6eb680, v23
	v_mul_f32_e32 v27, 0x3f6eb680, v8
	v_add_f32_e32 v7, v15, v7
	v_add_f32_e32 v15, v25, v24
	v_mul_f32_e32 v24, 0xbf06c442, v70
	v_add_f32_e32 v21, v74, v21
	v_add_f32_e32 v25, v26, v31
	v_fmamk_f32 v26, v9, 0x3eb8f4ab, v27
	v_fma_f32 v23, 0x3f6eb680, v75, -v23
	v_fmac_f32_e32 v27, 0xbeb8f4ab, v9
	v_fmamk_f32 v31, v75, 0xbf59a7d5, v24
	v_mul_f32_e32 v74, 0xbf59a7d5, v8
	v_add_f32_e32 v26, v26, v29
	v_add_f32_e32 v23, v23, v28
	;; [unrolled: 1-line block ×4, first 2 shown]
	v_fmamk_f32 v29, v9, 0x3f06c442, v74
	v_mul_f32_e32 v30, 0x3f7ee86f, v70
	v_fma_f32 v24, 0xbf59a7d5, v75, -v24
	v_fmac_f32_e32 v74, 0xbf06c442, v9
	v_mul_f32_e32 v31, 0x3dbcf732, v8
	v_add_f32_e32 v29, v29, v60
	v_fmamk_f32 v56, v75, 0x3dbcf732, v30
	v_add_f32_e32 v24, v24, v57
	v_add_f32_e32 v57, v74, v58
	v_fmamk_f32 v58, v9, 0xbf7ee86f, v31
	v_mul_f32_e32 v60, 0xbf2c7751, v70
	v_fma_f32 v30, 0x3dbcf732, v75, -v30
	v_add_f32_e32 v56, v56, v62
	v_fmac_f32_e32 v31, 0x3f7ee86f, v9
	v_add_f32_e32 v58, v58, v64
	v_fmamk_f32 v62, v75, 0x3f3d2fb0, v60
	v_mul_f32_e32 v64, 0x3f3d2fb0, v8
	v_add_f32_e32 v30, v30, v61
	v_mul_f32_e32 v61, 0xbe3c28d5, v70
	v_add_f32_e32 v71, v79, v71
	v_add_f32_e32 v31, v31, v63
	;; [unrolled: 1-line block ×3, first 2 shown]
	v_fmamk_f32 v63, v9, 0x3f2c7751, v64
	v_fma_f32 v60, 0x3f3d2fb0, v75, -v60
	v_fmac_f32_e32 v64, 0xbf2c7751, v9
	v_fmamk_f32 v65, v75, 0xbf7ba420, v61
	v_mul_f32_e32 v74, 0xbf7ba420, v8
	v_mul_f32_e32 v8, 0x3ee437d1, v8
	v_add_f32_e32 v59, v60, v59
	v_add_f32_e32 v60, v64, v71
	;; [unrolled: 1-line block ×3, first 2 shown]
	v_fmamk_f32 v65, v9, 0x3e3c28d5, v74
	v_add_f32_e32 v63, v63, v66
	v_mul_f32_e32 v66, 0x3f65296c, v70
	v_sub_f32_e32 v70, v18, v14
	v_add_f32_e32 v14, v18, v14
	v_add_f32_e32 v65, v65, v68
	v_fmamk_f32 v68, v9, 0xbf65296c, v8
	v_fmac_f32_e32 v74, 0xbe3c28d5, v9
	v_fmamk_f32 v67, v75, 0x3ee437d1, v66
	v_mul_f32_e32 v18, 0xbf06c442, v70
	v_fma_f32 v66, 0x3ee437d1, v75, -v66
	v_add_f32_e32 v21, v68, v21
	v_add_f32_e32 v68, v17, v13
	v_fmac_f32_e32 v8, 0x3f65296c, v9
	v_sub_f32_e32 v9, v17, v13
	v_mul_f32_e32 v13, 0xbf59a7d5, v14
	v_add_f32_e32 v19, v66, v19
	v_fmamk_f32 v17, v68, 0xbf59a7d5, v18
	v_add_f32_e32 v4, v8, v4
	v_mul_f32_e32 v8, 0x3f65296c, v70
	v_fmamk_f32 v66, v9, 0x3f06c442, v13
	v_fmac_f32_e32 v13, 0xbf06c442, v9
	v_add_f32_e32 v5, v17, v5
	v_fma_f32 v17, 0xbf59a7d5, v68, -v18
	v_fmamk_f32 v18, v68, 0x3ee437d1, v8
	v_add_f32_e32 v6, v66, v6
	v_mul_f32_e32 v66, 0x3ee437d1, v14
	v_add_f32_e32 v10, v13, v10
	v_add_f32_e32 v17, v17, v22
	;; [unrolled: 1-line block ×3, first 2 shown]
	v_mul_f32_e32 v13, 0xbf7ee86f, v70
	v_fmamk_f32 v18, v9, 0xbf65296c, v66
	v_fma_f32 v8, 0x3ee437d1, v68, -v8
	v_fmac_f32_e32 v66, 0x3f65296c, v9
	v_mul_f32_e32 v22, 0x3dbcf732, v14
	v_fmamk_f32 v71, v68, 0x3dbcf732, v13
	v_add_f32_e32 v18, v18, v20
	v_add_f32_e32 v7, v8, v7
	;; [unrolled: 1-line block ×3, first 2 shown]
	v_fmamk_f32 v15, v9, 0x3f7ee86f, v22
	v_add_f32_e32 v20, v71, v25
	v_mul_f32_e32 v25, 0x3f4c4adb, v70
	v_fma_f32 v13, 0x3dbcf732, v68, -v13
	v_fmac_f32_e32 v22, 0xbf7ee86f, v9
	v_add_f32_e32 v15, v15, v26
	v_mul_f32_e32 v26, 0xbf1a4643, v14
	v_fmamk_f32 v66, v68, 0xbf1a4643, v25
	v_add_f32_e32 v13, v13, v23
	v_add_f32_e32 v22, v22, v27
	v_mul_f32_e32 v23, 0xbeb8f4ab, v70
	v_fmamk_f32 v27, v9, 0xbf4c4adb, v26
	v_add_f32_e32 v66, v66, v28
	v_fma_f32 v25, 0xbf1a4643, v68, -v25
	v_fmac_f32_e32 v26, 0x3f4c4adb, v9
	v_fmamk_f32 v28, v68, 0x3f6eb680, v23
	v_add_f32_e32 v27, v27, v29
	v_mul_f32_e32 v29, 0x3f6eb680, v14
	v_add_f32_e32 v24, v25, v24
	v_add_f32_e32 v25, v26, v57
	;; [unrolled: 1-line block ×3, first 2 shown]
	v_mul_f32_e32 v57, 0xbf7ba420, v14
	v_fmamk_f32 v56, v9, 0x3eb8f4ab, v29
	v_fmac_f32_e32 v29, 0xbeb8f4ab, v9
	v_mul_f32_e32 v28, 0xbe3c28d5, v70
	v_fma_f32 v23, 0x3f6eb680, v68, -v23
	v_fma_f32 v61, 0xbf7ba420, v75, -v61
	v_add_f32_e32 v56, v56, v58
	v_add_f32_e32 v58, v29, v31
	v_fmamk_f32 v29, v9, 0x3e3c28d5, v57
	v_fmamk_f32 v71, v68, 0xbf7ba420, v28
	v_add_f32_e32 v23, v23, v30
	v_mul_f32_e32 v30, 0x3f2c7751, v70
	v_fma_f32 v28, 0xbf7ba420, v68, -v28
	v_fmac_f32_e32 v57, 0xbe3c28d5, v9
	v_add_f32_e32 v63, v29, v63
	v_mul_f32_e32 v29, 0x3f3d2fb0, v14
	v_add_f32_e32 v61, v61, v69
	v_add_f32_e32 v69, v74, v72
	v_fmamk_f32 v31, v68, 0x3f3d2fb0, v30
	v_add_f32_e32 v59, v28, v59
	v_add_f32_e32 v57, v57, v60
	v_mul_f32_e32 v28, 0xbf763a35, v70
	v_fmamk_f32 v60, v9, 0xbf2c7751, v29
	v_fmac_f32_e32 v29, 0x3f2c7751, v9
	v_add_f32_e32 v64, v31, v64
	v_fma_f32 v30, 0x3f3d2fb0, v68, -v30
	v_fmamk_f32 v31, v68, 0xbe8c1d8e, v28
	v_add_f32_e32 v60, v60, v65
	v_mul_f32_e32 v14, 0xbe8c1d8e, v14
	v_add_f32_e32 v65, v29, v69
	v_sub_f32_e32 v69, v2, v12
	v_fma_f32 v28, 0xbe8c1d8e, v68, -v28
	v_add_f32_e32 v68, v2, v12
	v_add_f32_e32 v62, v71, v62
	v_fmamk_f32 v29, v9, 0x3f763a35, v14
	v_add_f32_e32 v70, v16, v3
	v_mul_f32_e32 v12, 0xbe3c28d5, v69
	v_fmac_f32_e32 v14, 0xbf763a35, v9
	v_sub_f32_e32 v71, v16, v3
	v_mul_f32_e32 v9, 0xbf7ba420, v68
	v_add_f32_e32 v67, v67, v73
	v_fmamk_f32 v2, v70, 0xbf7ba420, v12
	v_add_f32_e32 v74, v14, v4
	v_mul_f32_e32 v14, 0x3eb8f4ab, v69
	v_fmamk_f32 v3, v71, 0x3e3c28d5, v9
	v_fmac_f32_e32 v9, 0xbe3c28d5, v71
	v_add_f32_e32 v67, v31, v67
	v_add_f32_e32 v2, v2, v5
	v_fma_f32 v4, 0xbf7ba420, v70, -v12
	v_add_f32_e32 v3, v3, v6
	v_fmamk_f32 v5, v70, 0x3f6eb680, v14
	v_mul_f32_e32 v6, 0x3f6eb680, v68
	v_add_f32_e32 v31, v9, v10
	v_mul_f32_e32 v9, 0xbf06c442, v69
	v_fma_f32 v10, 0x3f6eb680, v70, -v14
	v_mul_f32_e32 v12, 0xbf59a7d5, v68
	v_add_f32_e32 v61, v30, v61
	v_add_f32_e32 v73, v28, v19
	;; [unrolled: 1-line block ×4, first 2 shown]
	v_fmamk_f32 v5, v71, 0xbeb8f4ab, v6
	v_fmac_f32_e32 v6, 0x3eb8f4ab, v71
	v_fmamk_f32 v11, v70, 0xbf59a7d5, v9
	v_add_f32_e32 v28, v10, v7
	v_fmamk_f32 v7, v71, 0x3f06c442, v12
	v_add_f32_e32 v72, v29, v21
	v_add_f32_e32 v29, v6, v8
	;; [unrolled: 1-line block ×3, first 2 shown]
	v_mul_f32_e32 v11, 0x3f2c7751, v69
	v_fma_f32 v8, 0xbf59a7d5, v70, -v9
	v_fmac_f32_e32 v12, 0xbf06c442, v71
	v_mul_f32_e32 v14, 0x3f3d2fb0, v68
	v_add_f32_e32 v7, v7, v15
	v_mul_f32_e32 v15, 0xbf4c4adb, v69
	v_add_f32_e32 v8, v8, v13
	v_add_f32_e32 v9, v12, v22
	v_fmamk_f32 v12, v71, 0xbf2c7751, v14
	v_fma_f32 v13, 0x3f3d2fb0, v70, -v11
	v_fmac_f32_e32 v14, 0x3f2c7751, v71
	v_fmamk_f32 v16, v70, 0xbf1a4643, v15
	v_mul_f32_e32 v17, 0xbf1a4643, v68
	v_mul_f32_e32 v19, 0x3f65296c, v69
	v_add_f32_e32 v5, v5, v18
	v_fmamk_f32 v10, v70, 0x3f3d2fb0, v11
	v_add_f32_e32 v11, v12, v27
	v_add_f32_e32 v12, v13, v24
	;; [unrolled: 1-line block ×4, first 2 shown]
	v_fmamk_f32 v16, v71, 0x3f4c4adb, v17
	v_fma_f32 v18, 0xbf1a4643, v70, -v15
	v_fmamk_f32 v20, v70, 0x3ee437d1, v19
	v_mul_f32_e32 v21, 0x3ee437d1, v68
	v_mul_f32_e32 v22, 0xbf763a35, v69
	v_add_f32_e32 v15, v16, v56
	v_add_f32_e32 v16, v18, v23
	;; [unrolled: 1-line block ×3, first 2 shown]
	v_fmamk_f32 v20, v71, 0xbf65296c, v21
	v_fmac_f32_e32 v21, 0x3f65296c, v71
	v_fma_f32 v23, 0x3ee437d1, v70, -v19
	v_mul_f32_e32 v25, 0xbe8c1d8e, v68
	v_fmac_f32_e32 v17, 0xbf4c4adb, v71
	v_fmamk_f32 v24, v70, 0xbe8c1d8e, v22
	v_add_f32_e32 v21, v21, v57
	v_fma_f32 v26, 0xbe8c1d8e, v70, -v22
	v_mul_f32_e32 v27, 0x3f7ee86f, v69
	v_mul_f32_e32 v57, 0x3dbcf732, v68
	v_add_f32_e32 v19, v20, v63
	v_add_f32_e32 v20, v23, v59
	v_fmamk_f32 v23, v71, 0x3f763a35, v25
	v_add_f32_e32 v17, v17, v58
	v_add_f32_e32 v22, v24, v64
	;; [unrolled: 1-line block ×3, first 2 shown]
	v_fmamk_f32 v26, v70, 0x3dbcf732, v27
	v_fmamk_f32 v56, v71, 0xbf7ee86f, v57
	v_fma_f32 v58, 0x3dbcf732, v70, -v27
	v_fmac_f32_e32 v57, 0x3f7ee86f, v71
	v_fmac_f32_e32 v25, 0xbf763a35, v71
	v_add_f32_e32 v10, v10, v66
	v_add_f32_e32 v23, v23, v60
	;; [unrolled: 1-line block ×7, first 2 shown]
	ds_write2_b64 v133, v[0:1], v[2:3] offset1:17
	ds_write2_b64 v133, v[4:5], v[6:7] offset0:34 offset1:51
	ds_write2_b64 v133, v[10:11], v[14:15] offset0:68 offset1:85
	;; [unrolled: 1-line block ×7, first 2 shown]
	ds_write_b64 v133, v[30:31] offset:2176
	v_add_nc_u32_e32 v0, 0x400, v129
	s_waitcnt lgkmcnt(0)
	s_barrier
	buffer_gl0_inv
	ds_read2_b64 v[4:7], v129 offset1:51
	ds_read2_b64 v[0:3], v0 offset0:76 offset1:161
	ds_read2_b64 v[24:27], v124 offset0:66 offset1:117
	;; [unrolled: 1-line block ×6, first 2 shown]
	ds_read_b64 v[56:57], v129 offset:6256
	s_and_saveexec_b32 s0, vcc_lo
	s_cbranch_execz .LBB0_7
; %bb.6:
	ds_read_b64 v[28:29], v129 offset:2040
	ds_read_b64 v[30:31], v129 offset:4352
	;; [unrolled: 1-line block ×3, first 2 shown]
.LBB0_7:
	s_or_b32 exec_lo, exec_lo, s0
	s_waitcnt lgkmcnt(6)
	v_mul_f32_e32 v58, v41, v3
	v_mul_f32_e32 v41, v41, v2
	s_waitcnt lgkmcnt(5)
	v_mul_f32_e32 v59, v43, v25
	v_mul_f32_e32 v43, v43, v24
	v_fmac_f32_e32 v58, v40, v2
	v_fma_f32 v3, v40, v3, -v41
	s_waitcnt lgkmcnt(4)
	v_mul_f32_e32 v40, v37, v21
	v_mul_f32_e32 v2, v37, v20
	v_fmac_f32_e32 v59, v42, v24
	v_fma_f32 v24, v42, v25, -v43
	v_mul_f32_e32 v25, v39, v27
	v_fmac_f32_e32 v40, v36, v20
	v_mul_f32_e32 v20, v39, v26
	v_fma_f32 v21, v36, v21, -v2
	v_mul_f32_e32 v2, v53, v22
	v_mul_f32_e32 v36, v53, v23
	v_fmac_f32_e32 v25, v38, v26
	v_fma_f32 v20, v38, v27, -v20
	s_waitcnt lgkmcnt(1)
	v_mul_f32_e32 v27, v45, v13
	v_fma_f32 v23, v52, v23, -v2
	v_mul_f32_e32 v2, v45, v12
	v_mul_f32_e32 v39, v49, v15
	v_mul_f32_e32 v26, v55, v17
	v_fmac_f32_e32 v27, v44, v12
	v_mul_f32_e32 v12, v47, v18
	v_fma_f32 v38, v44, v13, -v2
	v_mul_f32_e32 v2, v49, v14
	v_add_f32_e32 v13, v4, v58
	v_fmac_f32_e32 v39, v48, v14
	v_fma_f32 v41, v46, v19, -v12
	s_waitcnt lgkmcnt(0)
	v_mul_f32_e32 v12, v51, v56
	v_fma_f32 v43, v48, v15, -v2
	v_add_f32_e32 v2, v58, v59
	v_sub_f32_e32 v14, v3, v24
	v_sub_f32_e32 v15, v58, v59
	v_fma_f32 v44, v50, v57, -v12
	v_add_f32_e32 v12, v3, v24
	v_fma_f32 v2, -0.5, v2, v4
	v_add_f32_e32 v4, v13, v59
	v_add_f32_e32 v13, v5, v3
	v_fmac_f32_e32 v36, v52, v22
	v_fma_f32 v3, -0.5, v12, v5
	v_mul_f32_e32 v22, v55, v16
	v_mul_f32_e32 v37, v47, v19
	v_fmamk_f32 v12, v14, 0xbf5db3d7, v2
	v_fmac_f32_e32 v2, 0x3f5db3d7, v14
	v_add_f32_e32 v5, v13, v24
	v_add_f32_e32 v14, v40, v25
	v_fmamk_f32 v13, v15, 0x3f5db3d7, v3
	v_fmac_f32_e32 v3, 0xbf5db3d7, v15
	v_add_f32_e32 v15, v21, v20
	v_fmac_f32_e32 v26, v54, v16
	v_fma_f32 v22, v54, v17, -v22
	v_fmac_f32_e32 v37, v46, v18
	v_add_f32_e32 v16, v6, v40
	v_fma_f32 v6, -0.5, v14, v6
	v_sub_f32_e32 v17, v21, v20
	v_add_f32_e32 v18, v7, v21
	v_fmac_f32_e32 v7, -0.5, v15
	v_sub_f32_e32 v19, v40, v25
	v_add_f32_e32 v14, v16, v25
	v_fmamk_f32 v16, v17, 0xbf5db3d7, v6
	v_fmac_f32_e32 v6, 0x3f5db3d7, v17
	v_add_f32_e32 v15, v18, v20
	v_add_f32_e32 v18, v36, v26
	v_fmamk_f32 v17, v19, 0x3f5db3d7, v7
	v_fmac_f32_e32 v7, 0xbf5db3d7, v19
	v_add_f32_e32 v19, v23, v22
	v_add_f32_e32 v20, v8, v36
	v_fma_f32 v8, -0.5, v18, v8
	v_sub_f32_e32 v21, v23, v22
	v_add_f32_e32 v23, v9, v23
	v_fma_f32 v9, -0.5, v19, v9
	v_sub_f32_e32 v24, v36, v26
	v_mul_f32_e32 v42, v51, v57
	v_add_f32_e32 v18, v20, v26
	v_fmamk_f32 v20, v21, 0xbf5db3d7, v8
	v_fmac_f32_e32 v8, 0x3f5db3d7, v21
	v_add_f32_e32 v19, v23, v22
	v_add_f32_e32 v22, v27, v37
	v_fmamk_f32 v21, v24, 0x3f5db3d7, v9
	v_add_f32_e32 v23, v10, v27
	v_fmac_f32_e32 v9, 0xbf5db3d7, v24
	v_add_f32_e32 v24, v38, v41
	v_fmac_f32_e32 v42, v50, v56
	v_fma_f32 v10, -0.5, v22, v10
	v_sub_f32_e32 v25, v38, v41
	v_add_f32_e32 v22, v23, v37
	v_add_f32_e32 v23, v11, v38
	v_fmac_f32_e32 v11, -0.5, v24
	v_sub_f32_e32 v26, v27, v37
	v_fmamk_f32 v24, v25, 0xbf5db3d7, v10
	v_fmac_f32_e32 v10, 0x3f5db3d7, v25
	v_add_f32_e32 v27, v39, v42
	v_add_f32_e32 v36, v0, v39
	v_fmamk_f32 v25, v26, 0x3f5db3d7, v11
	v_fmac_f32_e32 v11, 0xbf5db3d7, v26
	v_add_f32_e32 v26, v43, v44
	v_fma_f32 v0, -0.5, v27, v0
	v_sub_f32_e32 v27, v43, v44
	v_add_f32_e32 v37, v1, v43
	v_sub_f32_e32 v38, v39, v42
	v_fmac_f32_e32 v1, -0.5, v26
	v_add_f32_e32 v23, v23, v41
	v_add_f32_e32 v26, v36, v42
	v_fmamk_f32 v36, v27, 0xbf5db3d7, v0
	v_fmac_f32_e32 v0, 0x3f5db3d7, v27
	v_add_f32_e32 v27, v37, v44
	v_fmamk_f32 v37, v38, 0x3f5db3d7, v1
	v_fmac_f32_e32 v1, 0xbf5db3d7, v38
	ds_write_b64 v129, v[12:13] offset:2312
	ds_write_b64 v129, v[2:3] offset:4624
	ds_write2_b64 v129, v[4:5], v[14:15] offset1:51
	ds_write2_b64 v123, v[16:17], v[20:21] offset0:84 offset1:135
	ds_write2_b64 v124, v[6:7], v[8:9] offset0:117 offset1:168
	ds_write2_b64 v129, v[18:19], v[22:23] offset0:102 offset1:153
	ds_write_b64 v129, v[10:11] offset:5848
	ds_write_b64 v129, v[26:27] offset:1632
	ds_write2_b64 v123, v[24:25], v[36:37] offset0:186 offset1:237
	ds_write_b64 v129, v[0:1] offset:6256
	s_and_saveexec_b32 s0, vcc_lo
	s_cbranch_execz .LBB0_9
; %bb.8:
	v_mul_f32_e32 v0, v33, v30
	v_mul_f32_e32 v1, v35, v121
	v_mul_f32_e32 v2, v33, v31
	v_mul_f32_e32 v4, v35, v122
	v_fma_f32 v0, v32, v31, -v0
	v_fma_f32 v3, v34, v122, -v1
	v_fmac_f32_e32 v2, v32, v30
	v_fmac_f32_e32 v4, v34, v121
	v_add_f32_e32 v7, v29, v0
	v_add_f32_e32 v1, v0, v3
	v_sub_f32_e32 v8, v0, v3
	v_add_f32_e32 v5, v2, v4
	v_sub_f32_e32 v6, v2, v4
	v_add_f32_e32 v2, v28, v2
	v_fma_f32 v1, -0.5, v1, v29
	v_add_f32_e32 v3, v7, v3
	v_fma_f32 v0, -0.5, v5, v28
	v_add_f32_e32 v2, v2, v4
	v_fmamk_f32 v5, v6, 0xbf5db3d7, v1
	v_fmac_f32_e32 v1, 0x3f5db3d7, v6
	v_fmamk_f32 v4, v8, 0x3f5db3d7, v0
	v_fmac_f32_e32 v0, 0xbf5db3d7, v8
	ds_write_b64 v129, v[2:3] offset:2040
	ds_write_b64 v129, v[0:1] offset:4352
	;; [unrolled: 1-line block ×3, first 2 shown]
.LBB0_9:
	s_or_b32 exec_lo, exec_lo, s0
	s_waitcnt lgkmcnt(0)
	s_barrier
	buffer_gl0_inv
	ds_read2_b64 v[0:3], v129 offset1:51
	v_mad_u64_u32 v[16:17], null, s10, v90, 0
	v_mad_u64_u32 v[18:19], null, s8, v130, 0
	v_add_nc_u32_e32 v33, 0x800, v129
	ds_read2_b64 v[4:7], v129 offset0:102 offset1:153
	ds_read2_b64 v[8:11], v129 offset0:204 offset1:255
	;; [unrolled: 1-line block ×3, first 2 shown]
	s_mov_b32 s0, 0x8b5e3104
	s_mov_b32 s1, 0x3f52e5b8
	s_mul_i32 s2, s9, 0x198
	s_mul_hi_u32 s3, s8, 0x198
	s_add_i32 s2, s3, s2
	s_mul_i32 s3, s8, 0x198
	s_waitcnt lgkmcnt(3)
	v_mul_f32_e32 v20, v98, v1
	v_mul_f32_e32 v21, v98, v0
	v_mul_f32_e32 v22, v102, v3
	v_mul_f32_e32 v23, v102, v2
	v_fmac_f32_e32 v20, v97, v0
	v_fma_f32 v21, v97, v1, -v21
	v_mad_u64_u32 v[0:1], null, s11, v90, v[17:18]
	v_fmac_f32_e32 v22, v101, v2
	v_cvt_f64_f32_e32 v[1:2], v20
	v_cvt_f64_f32_e32 v[20:21], v21
	v_fma_f32 v3, v101, v3, -v23
	s_waitcnt lgkmcnt(2)
	v_mul_f32_e32 v28, v104, v7
	v_cvt_f64_f32_e32 v[22:23], v22
	v_mul_f32_e32 v29, v104, v6
	s_waitcnt lgkmcnt(1)
	v_mul_f32_e32 v30, v106, v9
	v_cvt_f64_f32_e32 v[24:25], v3
	v_mul_f32_e32 v3, v100, v5
	v_mul_f32_e32 v31, v106, v8
	;; [unrolled: 1-line block ×3, first 2 shown]
	v_fmac_f32_e32 v28, v103, v6
	v_fmac_f32_e32 v30, v105, v8
	;; [unrolled: 1-line block ×3, first 2 shown]
	v_mov_b32_e32 v17, v0
	v_mul_f32_e32 v34, v108, v10
	v_fmac_f32_e32 v32, v107, v10
	v_lshlrev_b64 v[16:17], 3, v[16:17]
	v_fma_f32 v11, v107, v11, -v34
	s_waitcnt lgkmcnt(0)
	v_mul_f32_e32 v34, v116, v15
	v_mul_f64 v[0:1], v[1:2], s[0:1]
	v_mad_u64_u32 v[26:27], null, s9, v130, v[19:20]
	v_mul_f32_e32 v27, v100, v4
	v_cvt_f64_f32_e32 v[3:4], v3
	v_add_co_u32 v2, vcc_lo, s4, v16
	v_fmac_f32_e32 v34, v115, v14
	v_mov_b32_e32 v19, v26
	v_fma_f32 v26, v99, v5, -v27
	v_fma_f32 v27, v103, v7, -v29
	v_mul_f64 v[5:6], v[20:21], s[0:1]
	v_mul_f64 v[7:8], v[22:23], s[0:1]
	;; [unrolled: 1-line block ×3, first 2 shown]
	v_fma_f32 v29, v105, v9, -v31
	v_cvt_f64_f32_e32 v[9:10], v26
	v_cvt_f64_f32_e32 v[22:23], v28
	;; [unrolled: 1-line block ×3, first 2 shown]
	v_lshlrev_b64 v[18:19], 3, v[18:19]
	v_cvt_f64_f32_e32 v[26:27], v30
	v_add_co_ci_u32_e32 v28, vcc_lo, s5, v17, vcc_lo
	v_cvt_f64_f32_e32 v[16:17], v29
	v_add_co_u32 v18, vcc_lo, v2, v18
	v_mul_f64 v[2:3], v[3:4], s[0:1]
	v_cvt_f32_f64_e32 v4, v[0:1]
	v_mul_f32_e32 v0, v118, v13
	v_mul_f32_e32 v1, v118, v12
	v_add_co_ci_u32_e32 v19, vcc_lo, v28, v19, vcc_lo
	v_add_co_u32 v30, vcc_lo, v18, s3
	v_cvt_f32_f64_e32 v5, v[5:6]
	v_cvt_f32_f64_e32 v6, v[7:8]
	;; [unrolled: 1-line block ×3, first 2 shown]
	v_cvt_f64_f32_e32 v[20:21], v32
	v_mul_f64 v[8:9], v[9:10], s[0:1]
	v_cvt_f64_f32_e32 v[10:11], v11
	v_mul_f64 v[22:23], v[22:23], s[0:1]
	v_mul_f64 v[24:25], v[24:25], s[0:1]
	v_fmac_f32_e32 v0, v117, v12
	v_fma_f32 v1, v117, v13, -v1
	v_mul_f64 v[12:13], v[26:27], s[0:1]
	v_mul_f64 v[16:17], v[16:17], s[0:1]
	v_add_co_ci_u32_e32 v31, vcc_lo, s2, v19, vcc_lo
	v_cvt_f64_f32_e32 v[26:27], v0
	v_cvt_f64_f32_e32 v[28:29], v1
	v_cvt_f32_f64_e32 v32, v[2:3]
	ds_read2_b64 v[0:3], v33 offset0:152 offset1:203
	v_mul_f64 v[20:21], v[20:21], s[0:1]
	v_cvt_f32_f64_e32 v33, v[8:9]
	v_mul_f64 v[8:9], v[10:11], s[0:1]
	v_cvt_f32_f64_e32 v22, v[22:23]
	v_cvt_f32_f64_e32 v23, v[24:25]
	v_add_co_u32 v10, vcc_lo, v30, s3
	v_cvt_f32_f64_e32 v12, v[12:13]
	v_cvt_f32_f64_e32 v13, v[16:17]
	v_add_co_ci_u32_e32 v11, vcc_lo, s2, v31, vcc_lo
	v_mul_f64 v[16:17], v[26:27], s[0:1]
	v_mul_f64 v[26:27], v[28:29], s[0:1]
	v_mul_f32_e32 v28, v116, v14
	s_waitcnt lgkmcnt(0)
	v_mul_f32_e32 v29, v114, v1
	v_mul_f32_e32 v35, v114, v0
	v_add_co_u32 v24, vcc_lo, v10, s3
	v_add_co_ci_u32_e32 v25, vcc_lo, s2, v11, vcc_lo
	v_fmac_f32_e32 v29, v113, v0
	global_store_dwordx2 v[18:19], v[4:5], off
	global_store_dwordx2 v[30:31], v[6:7], off
	;; [unrolled: 1-line block ×4, first 2 shown]
	v_cvt_f32_f64_e32 v14, v[20:21]
	v_fma_f32 v20, v115, v15, -v28
	v_fma_f32 v28, v113, v1, -v35
	v_cvt_f64_f32_e32 v[0:1], v34
	v_add_nc_u32_e32 v34, 0xc00, v129
	v_cvt_f32_f64_e32 v15, v[8:9]
	v_cvt_f64_f32_e32 v[8:9], v20
	v_cvt_f64_f32_e32 v[20:21], v29
	v_add_co_u32 v10, vcc_lo, v24, s3
	ds_read2_b64 v[4:7], v34 offset0:126 offset1:177
	v_cvt_f32_f64_e32 v16, v[16:17]
	v_cvt_f32_f64_e32 v17, v[26:27]
	v_add_co_ci_u32_e32 v11, vcc_lo, s2, v25, vcc_lo
	v_mul_f32_e32 v22, v110, v3
	v_add_co_u32 v18, vcc_lo, v10, s3
	v_add_co_ci_u32_e32 v19, vcc_lo, s2, v11, vcc_lo
	global_store_dwordx2 v[10:11], v[12:13], off
	v_fmac_f32_e32 v22, v109, v2
	v_mul_f32_e32 v2, v110, v2
	v_cvt_f64_f32_e32 v[28:29], v28
	v_add_nc_u32_e32 v26, 0x1000, v129
	v_mul_f64 v[0:1], v[0:1], s[0:1]
	global_store_dwordx2 v[18:19], v[14:15], off
	v_mul_f64 v[8:9], v[8:9], s[0:1]
	v_mul_f64 v[10:11], v[20:21], s[0:1]
	s_waitcnt lgkmcnt(0)
	v_mul_f32_e32 v20, v112, v5
	v_mul_f32_e32 v21, v112, v4
	v_add_co_u32 v14, vcc_lo, v18, s3
	v_add_co_ci_u32_e32 v15, vcc_lo, s2, v19, vcc_lo
	v_fma_f32 v2, v109, v3, -v2
	v_fmac_f32_e32 v20, v111, v4
	v_fma_f32 v3, v111, v5, -v21
	global_store_dwordx2 v[14:15], v[16:17], off
	v_cvt_f64_f32_e32 v[18:19], v22
	v_cvt_f64_f32_e32 v[4:5], v2
	v_cvt_f64_f32_e32 v[16:17], v20
	v_cvt_f64_f32_e32 v[20:21], v3
	v_mul_f32_e32 v27, v96, v6
	v_mul_f64 v[12:13], v[28:29], s[0:1]
	v_add_co_u32 v14, vcc_lo, v14, s3
	v_cvt_f32_f64_e32 v22, v[0:1]
	ds_read2_b64 v[0:3], v26 offset0:100 offset1:151
	v_cvt_f32_f64_e32 v23, v[8:9]
	v_cvt_f32_f64_e32 v24, v[10:11]
	ds_read2_b64 v[8:11], v26 offset0:202 offset1:253
	v_mul_f32_e32 v26, v96, v7
	v_fma_f32 v28, v95, v7, -v27
	v_add_co_ci_u32_e32 v15, vcc_lo, s2, v15, vcc_lo
	v_fmac_f32_e32 v26, v95, v6
	v_cvt_f64_f32_e32 v[28:29], v28
	v_mul_f64 v[18:19], v[18:19], s[0:1]
	v_mul_f64 v[4:5], v[4:5], s[0:1]
	;; [unrolled: 1-line block ×4, first 2 shown]
	v_cvt_f64_f32_e32 v[20:21], v26
	ds_read_b64 v[26:27], v129 offset:6528
	v_cvt_f32_f64_e32 v25, v[12:13]
	s_waitcnt lgkmcnt(2)
	v_mul_f32_e32 v30, v89, v1
	v_mul_f32_e32 v31, v89, v0
	;; [unrolled: 1-line block ×3, first 2 shown]
	s_waitcnt lgkmcnt(1)
	v_mul_f32_e32 v34, v85, v9
	v_mul_f32_e32 v33, v87, v2
	;; [unrolled: 1-line block ×4, first 2 shown]
	v_fmac_f32_e32 v30, v88, v0
	v_fmac_f32_e32 v34, v84, v8
	v_mul_f32_e32 v8, v85, v8
	v_fma_f32 v31, v88, v1, -v31
	v_fmac_f32_e32 v32, v86, v2
	v_fma_f32 v33, v86, v3, -v33
	v_fmac_f32_e32 v36, v91, v10
	v_fma_f32 v8, v84, v9, -v8
	v_fma_f32 v37, v91, v11, -v37
	v_cvt_f64_f32_e32 v[0:1], v30
	v_cvt_f64_f32_e32 v[2:3], v31
	s_waitcnt lgkmcnt(0)
	v_mul_f32_e32 v38, v94, v27
	v_mul_f32_e32 v39, v94, v26
	v_cvt_f64_f32_e32 v[30:31], v32
	v_cvt_f64_f32_e32 v[32:33], v33
	;; [unrolled: 1-line block ×3, first 2 shown]
	v_fmac_f32_e32 v38, v93, v26
	v_fma_f32 v39, v93, v27, -v39
	v_cvt_f64_f32_e32 v[8:9], v8
	v_cvt_f64_f32_e32 v[10:11], v36
	;; [unrolled: 1-line block ×5, first 2 shown]
	v_add_co_u32 v12, vcc_lo, v14, s3
	v_add_co_ci_u32_e32 v13, vcc_lo, s2, v15, vcc_lo
	global_store_dwordx2 v[14:15], v[22:23], off
	global_store_dwordx2 v[12:13], v[24:25], off
	v_cvt_f32_f64_e32 v14, v[18:19]
	v_cvt_f32_f64_e32 v15, v[4:5]
	v_mul_f64 v[4:5], v[20:21], s[0:1]
	v_mul_f64 v[18:19], v[28:29], s[0:1]
	;; [unrolled: 1-line block ×4, first 2 shown]
	v_cvt_f32_f64_e32 v6, v[6:7]
	v_cvt_f32_f64_e32 v7, v[16:17]
	v_mul_f64 v[16:17], v[30:31], s[0:1]
	v_mul_f64 v[20:21], v[32:33], s[0:1]
	;; [unrolled: 1-line block ×8, first 2 shown]
	v_add_co_u32 v12, vcc_lo, v12, s3
	v_add_co_ci_u32_e32 v13, vcc_lo, s2, v13, vcc_lo
	v_add_co_u32 v30, vcc_lo, v12, s3
	v_add_co_ci_u32_e32 v31, vcc_lo, s2, v13, vcc_lo
	v_cvt_f32_f64_e32 v4, v[4:5]
	v_cvt_f32_f64_e32 v5, v[18:19]
	v_add_co_u32 v18, vcc_lo, v30, s3
	v_add_co_ci_u32_e32 v19, vcc_lo, s2, v31, vcc_lo
	v_cvt_f32_f64_e32 v0, v[0:1]
	v_cvt_f32_f64_e32 v1, v[2:3]
	;; [unrolled: 4-line block ×3, first 2 shown]
	v_cvt_f32_f64_e32 v20, v[22:23]
	v_cvt_f32_f64_e32 v21, v[8:9]
	;; [unrolled: 1-line block ×6, first 2 shown]
	v_add_co_u32 v22, vcc_lo, v2, s3
	v_add_co_ci_u32_e32 v23, vcc_lo, s2, v3, vcc_lo
	global_store_dwordx2 v[12:13], v[14:15], off
	v_add_co_u32 v12, vcc_lo, v22, s3
	v_add_co_ci_u32_e32 v13, vcc_lo, s2, v23, vcc_lo
	global_store_dwordx2 v[30:31], v[6:7], off
	;; [unrolled: 3-line block ×4, first 2 shown]
	global_store_dwordx2 v[22:23], v[16:17], off
	global_store_dwordx2 v[12:13], v[20:21], off
	;; [unrolled: 1-line block ×4, first 2 shown]
.LBB0_10:
	s_endpgm
	.section	.rodata,"a",@progbits
	.p2align	6, 0x0
	.amdhsa_kernel bluestein_single_back_len867_dim1_sp_op_CI_CI
		.amdhsa_group_segment_fixed_size 6936
		.amdhsa_private_segment_fixed_size 0
		.amdhsa_kernarg_size 104
		.amdhsa_user_sgpr_count 6
		.amdhsa_user_sgpr_private_segment_buffer 1
		.amdhsa_user_sgpr_dispatch_ptr 0
		.amdhsa_user_sgpr_queue_ptr 0
		.amdhsa_user_sgpr_kernarg_segment_ptr 1
		.amdhsa_user_sgpr_dispatch_id 0
		.amdhsa_user_sgpr_flat_scratch_init 0
		.amdhsa_user_sgpr_private_segment_size 0
		.amdhsa_wavefront_size32 1
		.amdhsa_uses_dynamic_stack 0
		.amdhsa_system_sgpr_private_segment_wavefront_offset 0
		.amdhsa_system_sgpr_workgroup_id_x 1
		.amdhsa_system_sgpr_workgroup_id_y 0
		.amdhsa_system_sgpr_workgroup_id_z 0
		.amdhsa_system_sgpr_workgroup_info 0
		.amdhsa_system_vgpr_workitem_id 0
		.amdhsa_next_free_vgpr 248
		.amdhsa_next_free_sgpr 20
		.amdhsa_reserve_vcc 1
		.amdhsa_reserve_flat_scratch 0
		.amdhsa_float_round_mode_32 0
		.amdhsa_float_round_mode_16_64 0
		.amdhsa_float_denorm_mode_32 3
		.amdhsa_float_denorm_mode_16_64 3
		.amdhsa_dx10_clamp 1
		.amdhsa_ieee_mode 1
		.amdhsa_fp16_overflow 0
		.amdhsa_workgroup_processor_mode 1
		.amdhsa_memory_ordered 1
		.amdhsa_forward_progress 0
		.amdhsa_shared_vgpr_count 0
		.amdhsa_exception_fp_ieee_invalid_op 0
		.amdhsa_exception_fp_denorm_src 0
		.amdhsa_exception_fp_ieee_div_zero 0
		.amdhsa_exception_fp_ieee_overflow 0
		.amdhsa_exception_fp_ieee_underflow 0
		.amdhsa_exception_fp_ieee_inexact 0
		.amdhsa_exception_int_div_zero 0
	.end_amdhsa_kernel
	.text
.Lfunc_end0:
	.size	bluestein_single_back_len867_dim1_sp_op_CI_CI, .Lfunc_end0-bluestein_single_back_len867_dim1_sp_op_CI_CI
                                        ; -- End function
	.section	.AMDGPU.csdata,"",@progbits
; Kernel info:
; codeLenInByte = 26408
; NumSgprs: 22
; NumVgprs: 248
; ScratchSize: 0
; MemoryBound: 0
; FloatMode: 240
; IeeeMode: 1
; LDSByteSize: 6936 bytes/workgroup (compile time only)
; SGPRBlocks: 2
; VGPRBlocks: 30
; NumSGPRsForWavesPerEU: 22
; NumVGPRsForWavesPerEU: 248
; Occupancy: 4
; WaveLimiterHint : 1
; COMPUTE_PGM_RSRC2:SCRATCH_EN: 0
; COMPUTE_PGM_RSRC2:USER_SGPR: 6
; COMPUTE_PGM_RSRC2:TRAP_HANDLER: 0
; COMPUTE_PGM_RSRC2:TGID_X_EN: 1
; COMPUTE_PGM_RSRC2:TGID_Y_EN: 0
; COMPUTE_PGM_RSRC2:TGID_Z_EN: 0
; COMPUTE_PGM_RSRC2:TIDIG_COMP_CNT: 0
	.text
	.p2alignl 6, 3214868480
	.fill 48, 4, 3214868480
	.type	__hip_cuid_4986df154c2954b1,@object ; @__hip_cuid_4986df154c2954b1
	.section	.bss,"aw",@nobits
	.globl	__hip_cuid_4986df154c2954b1
__hip_cuid_4986df154c2954b1:
	.byte	0                               ; 0x0
	.size	__hip_cuid_4986df154c2954b1, 1

	.ident	"AMD clang version 19.0.0git (https://github.com/RadeonOpenCompute/llvm-project roc-6.4.0 25133 c7fe45cf4b819c5991fe208aaa96edf142730f1d)"
	.section	".note.GNU-stack","",@progbits
	.addrsig
	.addrsig_sym __hip_cuid_4986df154c2954b1
	.amdgpu_metadata
---
amdhsa.kernels:
  - .args:
      - .actual_access:  read_only
        .address_space:  global
        .offset:         0
        .size:           8
        .value_kind:     global_buffer
      - .actual_access:  read_only
        .address_space:  global
        .offset:         8
        .size:           8
        .value_kind:     global_buffer
      - .actual_access:  read_only
        .address_space:  global
        .offset:         16
        .size:           8
        .value_kind:     global_buffer
      - .actual_access:  read_only
        .address_space:  global
        .offset:         24
        .size:           8
        .value_kind:     global_buffer
      - .actual_access:  read_only
        .address_space:  global
        .offset:         32
        .size:           8
        .value_kind:     global_buffer
      - .offset:         40
        .size:           8
        .value_kind:     by_value
      - .address_space:  global
        .offset:         48
        .size:           8
        .value_kind:     global_buffer
      - .address_space:  global
        .offset:         56
        .size:           8
        .value_kind:     global_buffer
      - .address_space:  global
        .offset:         64
        .size:           8
        .value_kind:     global_buffer
      - .address_space:  global
        .offset:         72
        .size:           8
        .value_kind:     global_buffer
      - .offset:         80
        .size:           4
        .value_kind:     by_value
      - .address_space:  global
        .offset:         88
        .size:           8
        .value_kind:     global_buffer
      - .address_space:  global
        .offset:         96
        .size:           8
        .value_kind:     global_buffer
    .group_segment_fixed_size: 6936
    .kernarg_segment_align: 8
    .kernarg_segment_size: 104
    .language:       OpenCL C
    .language_version:
      - 2
      - 0
    .max_flat_workgroup_size: 51
    .name:           bluestein_single_back_len867_dim1_sp_op_CI_CI
    .private_segment_fixed_size: 0
    .sgpr_count:     22
    .sgpr_spill_count: 0
    .symbol:         bluestein_single_back_len867_dim1_sp_op_CI_CI.kd
    .uniform_work_group_size: 1
    .uses_dynamic_stack: false
    .vgpr_count:     248
    .vgpr_spill_count: 0
    .wavefront_size: 32
    .workgroup_processor_mode: 1
amdhsa.target:   amdgcn-amd-amdhsa--gfx1030
amdhsa.version:
  - 1
  - 2
...

	.end_amdgpu_metadata
